;; amdgpu-corpus repo=ROCm/rocFFT kind=compiled arch=gfx1201 opt=O3
	.text
	.amdgcn_target "amdgcn-amd-amdhsa--gfx1201"
	.amdhsa_code_object_version 6
	.protected	fft_rtc_fwd_len840_factors_2_2_2_3_5_7_wgs_56_tpt_56_halfLds_dp_ip_CI_sbrr_dirReg ; -- Begin function fft_rtc_fwd_len840_factors_2_2_2_3_5_7_wgs_56_tpt_56_halfLds_dp_ip_CI_sbrr_dirReg
	.globl	fft_rtc_fwd_len840_factors_2_2_2_3_5_7_wgs_56_tpt_56_halfLds_dp_ip_CI_sbrr_dirReg
	.p2align	8
	.type	fft_rtc_fwd_len840_factors_2_2_2_3_5_7_wgs_56_tpt_56_halfLds_dp_ip_CI_sbrr_dirReg,@function
fft_rtc_fwd_len840_factors_2_2_2_3_5_7_wgs_56_tpt_56_halfLds_dp_ip_CI_sbrr_dirReg: ; @fft_rtc_fwd_len840_factors_2_2_2_3_5_7_wgs_56_tpt_56_halfLds_dp_ip_CI_sbrr_dirReg
; %bb.0:
	s_clause 0x2
	s_load_b64 s[12:13], s[0:1], 0x18
	s_load_b128 s[4:7], s[0:1], 0x0
	s_load_b64 s[10:11], s[0:1], 0x50
	v_mul_u32_u24_e32 v1, 0x493, v0
	v_mov_b32_e32 v3, 0
	s_delay_alu instid0(VALU_DEP_2) | instskip(NEXT) | instid1(VALU_DEP_1)
	v_lshrrev_b32_e32 v1, 16, v1
	v_add_nc_u32_e32 v5, ttmp9, v1
	v_mov_b32_e32 v1, 0
	v_mov_b32_e32 v2, 0
	;; [unrolled: 1-line block ×3, first 2 shown]
	s_wait_kmcnt 0x0
	s_load_b64 s[8:9], s[12:13], 0x0
	v_cmp_lt_u64_e64 s2, s[6:7], 2
	s_delay_alu instid0(VALU_DEP_1)
	s_and_b32 vcc_lo, exec_lo, s2
	s_cbranch_vccnz .LBB0_8
; %bb.1:
	s_load_b64 s[2:3], s[0:1], 0x10
	v_mov_b32_e32 v1, 0
	v_mov_b32_e32 v2, 0
	s_add_nc_u64 s[14:15], s[12:13], 8
	s_mov_b64 s[16:17], 1
	s_wait_kmcnt 0x0
	s_add_nc_u64 s[18:19], s[2:3], 8
	s_mov_b32 s3, 0
.LBB0_2:                                ; =>This Inner Loop Header: Depth=1
	s_load_b64 s[20:21], s[18:19], 0x0
                                        ; implicit-def: $vgpr7_vgpr8
	s_mov_b32 s2, exec_lo
	s_wait_kmcnt 0x0
	v_or_b32_e32 v4, s21, v6
	s_delay_alu instid0(VALU_DEP_1)
	v_cmpx_ne_u64_e32 0, v[3:4]
	s_wait_alu 0xfffe
	s_xor_b32 s22, exec_lo, s2
	s_cbranch_execz .LBB0_4
; %bb.3:                                ;   in Loop: Header=BB0_2 Depth=1
	s_cvt_f32_u32 s2, s20
	s_cvt_f32_u32 s23, s21
	s_sub_nc_u64 s[26:27], 0, s[20:21]
	s_wait_alu 0xfffe
	s_delay_alu instid0(SALU_CYCLE_1) | instskip(SKIP_1) | instid1(SALU_CYCLE_2)
	s_fmamk_f32 s2, s23, 0x4f800000, s2
	s_wait_alu 0xfffe
	v_s_rcp_f32 s2, s2
	s_delay_alu instid0(TRANS32_DEP_1) | instskip(SKIP_1) | instid1(SALU_CYCLE_2)
	s_mul_f32 s2, s2, 0x5f7ffffc
	s_wait_alu 0xfffe
	s_mul_f32 s23, s2, 0x2f800000
	s_wait_alu 0xfffe
	s_delay_alu instid0(SALU_CYCLE_2) | instskip(SKIP_1) | instid1(SALU_CYCLE_2)
	s_trunc_f32 s23, s23
	s_wait_alu 0xfffe
	s_fmamk_f32 s2, s23, 0xcf800000, s2
	s_cvt_u32_f32 s25, s23
	s_wait_alu 0xfffe
	s_delay_alu instid0(SALU_CYCLE_1) | instskip(SKIP_1) | instid1(SALU_CYCLE_2)
	s_cvt_u32_f32 s24, s2
	s_wait_alu 0xfffe
	s_mul_u64 s[28:29], s[26:27], s[24:25]
	s_wait_alu 0xfffe
	s_mul_hi_u32 s31, s24, s29
	s_mul_i32 s30, s24, s29
	s_mul_hi_u32 s2, s24, s28
	s_mul_i32 s33, s25, s28
	s_wait_alu 0xfffe
	s_add_nc_u64 s[30:31], s[2:3], s[30:31]
	s_mul_hi_u32 s23, s25, s28
	s_mul_hi_u32 s34, s25, s29
	s_add_co_u32 s2, s30, s33
	s_wait_alu 0xfffe
	s_add_co_ci_u32 s2, s31, s23
	s_mul_i32 s28, s25, s29
	s_add_co_ci_u32 s29, s34, 0
	s_wait_alu 0xfffe
	s_add_nc_u64 s[28:29], s[2:3], s[28:29]
	s_wait_alu 0xfffe
	v_add_co_u32 v4, s2, s24, s28
	s_delay_alu instid0(VALU_DEP_1) | instskip(SKIP_1) | instid1(VALU_DEP_1)
	s_cmp_lg_u32 s2, 0
	s_add_co_ci_u32 s25, s25, s29
	v_readfirstlane_b32 s24, v4
	s_wait_alu 0xfffe
	s_delay_alu instid0(VALU_DEP_1)
	s_mul_u64 s[26:27], s[26:27], s[24:25]
	s_wait_alu 0xfffe
	s_mul_hi_u32 s29, s24, s27
	s_mul_i32 s28, s24, s27
	s_mul_hi_u32 s2, s24, s26
	s_mul_i32 s30, s25, s26
	s_wait_alu 0xfffe
	s_add_nc_u64 s[28:29], s[2:3], s[28:29]
	s_mul_hi_u32 s23, s25, s26
	s_mul_hi_u32 s24, s25, s27
	s_wait_alu 0xfffe
	s_add_co_u32 s2, s28, s30
	s_add_co_ci_u32 s2, s29, s23
	s_mul_i32 s26, s25, s27
	s_add_co_ci_u32 s27, s24, 0
	s_wait_alu 0xfffe
	s_add_nc_u64 s[26:27], s[2:3], s[26:27]
	s_wait_alu 0xfffe
	v_add_co_u32 v4, s2, v4, s26
	s_delay_alu instid0(VALU_DEP_1) | instskip(SKIP_1) | instid1(VALU_DEP_1)
	s_cmp_lg_u32 s2, 0
	s_add_co_ci_u32 s2, s25, s27
	v_mul_hi_u32 v13, v5, v4
	s_wait_alu 0xfffe
	v_mad_co_u64_u32 v[7:8], null, v5, s2, 0
	v_mad_co_u64_u32 v[9:10], null, v6, v4, 0
	;; [unrolled: 1-line block ×3, first 2 shown]
	s_delay_alu instid0(VALU_DEP_3) | instskip(SKIP_1) | instid1(VALU_DEP_4)
	v_add_co_u32 v4, vcc_lo, v13, v7
	s_wait_alu 0xfffd
	v_add_co_ci_u32_e32 v7, vcc_lo, 0, v8, vcc_lo
	s_delay_alu instid0(VALU_DEP_2) | instskip(SKIP_1) | instid1(VALU_DEP_2)
	v_add_co_u32 v4, vcc_lo, v4, v9
	s_wait_alu 0xfffd
	v_add_co_ci_u32_e32 v4, vcc_lo, v7, v10, vcc_lo
	s_wait_alu 0xfffd
	v_add_co_ci_u32_e32 v7, vcc_lo, 0, v12, vcc_lo
	s_delay_alu instid0(VALU_DEP_2) | instskip(SKIP_1) | instid1(VALU_DEP_2)
	v_add_co_u32 v4, vcc_lo, v4, v11
	s_wait_alu 0xfffd
	v_add_co_ci_u32_e32 v9, vcc_lo, 0, v7, vcc_lo
	s_delay_alu instid0(VALU_DEP_2) | instskip(SKIP_1) | instid1(VALU_DEP_3)
	v_mul_lo_u32 v10, s21, v4
	v_mad_co_u64_u32 v[7:8], null, s20, v4, 0
	v_mul_lo_u32 v11, s20, v9
	s_delay_alu instid0(VALU_DEP_2) | instskip(NEXT) | instid1(VALU_DEP_2)
	v_sub_co_u32 v7, vcc_lo, v5, v7
	v_add3_u32 v8, v8, v11, v10
	s_delay_alu instid0(VALU_DEP_1) | instskip(SKIP_1) | instid1(VALU_DEP_1)
	v_sub_nc_u32_e32 v10, v6, v8
	s_wait_alu 0xfffd
	v_subrev_co_ci_u32_e64 v10, s2, s21, v10, vcc_lo
	v_add_co_u32 v11, s2, v4, 2
	s_wait_alu 0xf1ff
	v_add_co_ci_u32_e64 v12, s2, 0, v9, s2
	v_sub_co_u32 v13, s2, v7, s20
	v_sub_co_ci_u32_e32 v8, vcc_lo, v6, v8, vcc_lo
	s_wait_alu 0xf1ff
	v_subrev_co_ci_u32_e64 v10, s2, 0, v10, s2
	s_delay_alu instid0(VALU_DEP_3) | instskip(NEXT) | instid1(VALU_DEP_3)
	v_cmp_le_u32_e32 vcc_lo, s20, v13
	v_cmp_eq_u32_e64 s2, s21, v8
	s_wait_alu 0xfffd
	v_cndmask_b32_e64 v13, 0, -1, vcc_lo
	v_cmp_le_u32_e32 vcc_lo, s21, v10
	s_wait_alu 0xfffd
	v_cndmask_b32_e64 v14, 0, -1, vcc_lo
	v_cmp_le_u32_e32 vcc_lo, s20, v7
	;; [unrolled: 3-line block ×3, first 2 shown]
	s_wait_alu 0xfffd
	v_cndmask_b32_e64 v15, 0, -1, vcc_lo
	v_cmp_eq_u32_e32 vcc_lo, s21, v10
	s_wait_alu 0xf1ff
	s_delay_alu instid0(VALU_DEP_2)
	v_cndmask_b32_e64 v7, v15, v7, s2
	s_wait_alu 0xfffd
	v_cndmask_b32_e32 v10, v14, v13, vcc_lo
	v_add_co_u32 v13, vcc_lo, v4, 1
	s_wait_alu 0xfffd
	v_add_co_ci_u32_e32 v14, vcc_lo, 0, v9, vcc_lo
	s_delay_alu instid0(VALU_DEP_3) | instskip(SKIP_2) | instid1(VALU_DEP_3)
	v_cmp_ne_u32_e32 vcc_lo, 0, v10
	s_wait_alu 0xfffd
	v_cndmask_b32_e32 v10, v13, v11, vcc_lo
	v_cndmask_b32_e32 v8, v14, v12, vcc_lo
	v_cmp_ne_u32_e32 vcc_lo, 0, v7
	s_wait_alu 0xfffd
	s_delay_alu instid0(VALU_DEP_2)
	v_dual_cndmask_b32 v7, v4, v10 :: v_dual_cndmask_b32 v8, v9, v8
.LBB0_4:                                ;   in Loop: Header=BB0_2 Depth=1
	s_wait_alu 0xfffe
	s_and_not1_saveexec_b32 s2, s22
	s_cbranch_execz .LBB0_6
; %bb.5:                                ;   in Loop: Header=BB0_2 Depth=1
	v_cvt_f32_u32_e32 v4, s20
	s_sub_co_i32 s22, 0, s20
	s_delay_alu instid0(VALU_DEP_1) | instskip(NEXT) | instid1(TRANS32_DEP_1)
	v_rcp_iflag_f32_e32 v4, v4
	v_mul_f32_e32 v4, 0x4f7ffffe, v4
	s_delay_alu instid0(VALU_DEP_1) | instskip(SKIP_1) | instid1(VALU_DEP_1)
	v_cvt_u32_f32_e32 v4, v4
	s_wait_alu 0xfffe
	v_mul_lo_u32 v7, s22, v4
	s_delay_alu instid0(VALU_DEP_1) | instskip(NEXT) | instid1(VALU_DEP_1)
	v_mul_hi_u32 v7, v4, v7
	v_add_nc_u32_e32 v4, v4, v7
	s_delay_alu instid0(VALU_DEP_1) | instskip(NEXT) | instid1(VALU_DEP_1)
	v_mul_hi_u32 v4, v5, v4
	v_mul_lo_u32 v7, v4, s20
	v_add_nc_u32_e32 v8, 1, v4
	s_delay_alu instid0(VALU_DEP_2) | instskip(NEXT) | instid1(VALU_DEP_1)
	v_sub_nc_u32_e32 v7, v5, v7
	v_subrev_nc_u32_e32 v9, s20, v7
	v_cmp_le_u32_e32 vcc_lo, s20, v7
	s_wait_alu 0xfffd
	s_delay_alu instid0(VALU_DEP_2) | instskip(NEXT) | instid1(VALU_DEP_1)
	v_dual_cndmask_b32 v7, v7, v9 :: v_dual_cndmask_b32 v4, v4, v8
	v_cmp_le_u32_e32 vcc_lo, s20, v7
	s_delay_alu instid0(VALU_DEP_2) | instskip(SKIP_1) | instid1(VALU_DEP_1)
	v_add_nc_u32_e32 v8, 1, v4
	s_wait_alu 0xfffd
	v_dual_cndmask_b32 v7, v4, v8 :: v_dual_mov_b32 v8, v3
.LBB0_6:                                ;   in Loop: Header=BB0_2 Depth=1
	s_wait_alu 0xfffe
	s_or_b32 exec_lo, exec_lo, s2
	s_load_b64 s[22:23], s[14:15], 0x0
	s_delay_alu instid0(VALU_DEP_1)
	v_mul_lo_u32 v4, v8, s20
	v_mul_lo_u32 v11, v7, s21
	v_mad_co_u64_u32 v[9:10], null, v7, s20, 0
	s_add_nc_u64 s[16:17], s[16:17], 1
	s_add_nc_u64 s[14:15], s[14:15], 8
	s_wait_alu 0xfffe
	v_cmp_ge_u64_e64 s2, s[16:17], s[6:7]
	s_add_nc_u64 s[18:19], s[18:19], 8
	s_delay_alu instid0(VALU_DEP_2) | instskip(NEXT) | instid1(VALU_DEP_3)
	v_add3_u32 v4, v10, v11, v4
	v_sub_co_u32 v5, vcc_lo, v5, v9
	s_wait_alu 0xfffd
	s_delay_alu instid0(VALU_DEP_2) | instskip(SKIP_3) | instid1(VALU_DEP_2)
	v_sub_co_ci_u32_e32 v4, vcc_lo, v6, v4, vcc_lo
	s_and_b32 vcc_lo, exec_lo, s2
	s_wait_kmcnt 0x0
	v_mul_lo_u32 v6, s23, v5
	v_mul_lo_u32 v4, s22, v4
	v_mad_co_u64_u32 v[1:2], null, s22, v5, v[1:2]
	s_delay_alu instid0(VALU_DEP_1)
	v_add3_u32 v2, v6, v2, v4
	s_wait_alu 0xfffe
	s_cbranch_vccnz .LBB0_9
; %bb.7:                                ;   in Loop: Header=BB0_2 Depth=1
	v_dual_mov_b32 v5, v7 :: v_dual_mov_b32 v6, v8
	s_branch .LBB0_2
.LBB0_8:
	v_dual_mov_b32 v8, v6 :: v_dual_mov_b32 v7, v5
.LBB0_9:
	s_lshl_b64 s[2:3], s[6:7], 3
	v_mul_hi_u32 v3, 0x4924925, v0
	s_wait_alu 0xfffe
	s_add_nc_u64 s[2:3], s[12:13], s[2:3]
	s_load_b64 s[0:1], s[0:1], 0x20
	s_load_b64 s[2:3], s[2:3], 0x0
                                        ; implicit-def: $vgpr92
	s_delay_alu instid0(VALU_DEP_1) | instskip(NEXT) | instid1(VALU_DEP_1)
	v_mul_u32_u24_e32 v3, 56, v3
	v_sub_nc_u32_e32 v138, v0, v3
	s_delay_alu instid0(VALU_DEP_1)
	v_add_nc_u32_e32 v140, 56, v138
	v_add_nc_u32_e32 v139, 0x70, v138
	;; [unrolled: 1-line block ×4, first 2 shown]
	s_wait_kmcnt 0x0
	v_cmp_gt_u64_e32 vcc_lo, s[0:1], v[7:8]
	v_mul_lo_u32 v3, s2, v8
	v_mul_lo_u32 v4, s3, v7
	v_mad_co_u64_u32 v[0:1], null, s2, v7, v[1:2]
	v_cmp_le_u64_e64 s0, s[0:1], v[7:8]
	v_add_nc_u32_e32 v78, 0x118, v138
	v_add_nc_u32_e32 v79, 0x150, v138
	s_delay_alu instid0(VALU_DEP_4) | instskip(NEXT) | instid1(VALU_DEP_4)
	v_add3_u32 v1, v4, v1, v3
	s_and_saveexec_b32 s1, s0
	s_wait_alu 0xfffe
	s_xor_b32 s0, exec_lo, s1
; %bb.10:
	v_add_nc_u32_e32 v92, 56, v138
	v_add_nc_u32_e32 v139, 0x70, v138
	;; [unrolled: 1-line block ×6, first 2 shown]
; %bb.11:
	s_wait_alu 0xfffe
	s_or_saveexec_b32 s1, s0
	v_lshlrev_b64_e32 v[120:121], 4, v[0:1]
                                        ; implicit-def: $vgpr64_vgpr65
                                        ; implicit-def: $vgpr60_vgpr61
                                        ; implicit-def: $vgpr48_vgpr49
                                        ; implicit-def: $vgpr34_vgpr35
                                        ; implicit-def: $vgpr52_vgpr53
                                        ; implicit-def: $vgpr38_vgpr39
                                        ; implicit-def: $vgpr56_vgpr57
                                        ; implicit-def: $vgpr42_vgpr43
                                        ; implicit-def: $vgpr30_vgpr31
                                        ; implicit-def: $vgpr26_vgpr27
                                        ; implicit-def: $vgpr18_vgpr19
                                        ; implicit-def: $vgpr10_vgpr11
                                        ; implicit-def: $vgpr22_vgpr23
                                        ; implicit-def: $vgpr14_vgpr15
                                        ; implicit-def: $vgpr6_vgpr7
                                        ; implicit-def: $vgpr2_vgpr3
	s_wait_alu 0xfffe
	s_xor_b32 exec_lo, exec_lo, s1
	s_cbranch_execz .LBB0_15
; %bb.12:
	v_add_nc_u32_e32 v6, 0x1a4, v138
	v_mad_co_u64_u32 v[0:1], null, s8, v138, 0
	v_mad_co_u64_u32 v[8:9], null, s8, v140, 0
	s_delay_alu instid0(VALU_DEP_3) | instskip(SKIP_4) | instid1(VALU_DEP_4)
	v_mad_co_u64_u32 v[2:3], null, s8, v6, 0
	v_add_co_u32 v44, s0, s10, v120
	s_wait_alu 0xf1ff
	v_add_co_ci_u32_e64 v45, s0, s11, v121, s0
	v_mad_co_u64_u32 v[12:13], null, s8, v139, 0
	v_mad_co_u64_u32 v[4:5], null, s9, v138, v[1:2]
	v_add_nc_u32_e32 v19, 0x214, v138
	v_mad_co_u64_u32 v[24:25], null, s8, v85, 0
	v_mad_co_u64_u32 v[32:33], null, s8, v84, 0
	v_mad_co_u64_u32 v[41:42], null, s8, v79, 0
	v_mov_b32_e32 v1, v4
	v_mad_co_u64_u32 v[5:6], null, s9, v6, v[3:4]
	v_add_nc_u32_e32 v14, 0x1dc, v138
	v_add_nc_u32_e32 v43, 0x2bc, v138
	s_delay_alu instid0(VALU_DEP_4)
	v_lshlrev_b64_e32 v[0:1], 4, v[0:1]
	v_mad_co_u64_u32 v[36:37], null, s8, v78, 0
	v_add_nc_u32_e32 v49, 0x2f4, v138
	v_mov_b32_e32 v3, v5
	v_mad_co_u64_u32 v[10:11], null, s8, v14, 0
	v_mov_b32_e32 v4, v9
	v_add_co_u32 v0, s0, v44, v0
	s_delay_alu instid0(VALU_DEP_4) | instskip(SKIP_4) | instid1(VALU_DEP_4)
	v_lshlrev_b64_e32 v[2:3], 4, v[2:3]
	s_wait_alu 0xf1ff
	v_add_co_ci_u32_e64 v1, s0, v45, v1, s0
	v_mad_co_u64_u32 v[4:5], null, s9, v140, v[4:5]
	v_mov_b32_e32 v5, v11
	v_add_co_u32 v6, s0, v44, v2
	v_dual_mov_b32 v11, v13 :: v_dual_add_nc_u32 v20, 0x24c, v138
	s_wait_alu 0xf1ff
	v_add_co_ci_u32_e64 v7, s0, v45, v3, s0
	s_delay_alu instid0(VALU_DEP_3) | instskip(SKIP_4) | instid1(VALU_DEP_4)
	v_mad_co_u64_u32 v[14:15], null, s9, v14, v[5:6]
	v_mad_co_u64_u32 v[15:16], null, s8, v19, 0
	v_mov_b32_e32 v9, v4
	v_mad_co_u64_u32 v[17:18], null, s9, v139, v[11:12]
	v_mad_co_u64_u32 v[26:27], null, s8, v20, 0
	v_dual_mov_b32 v11, v14 :: v_dual_mov_b32 v14, v16
	s_delay_alu instid0(VALU_DEP_4) | instskip(NEXT) | instid1(VALU_DEP_4)
	v_lshlrev_b64_e32 v[8:9], 4, v[8:9]
	v_dual_mov_b32 v13, v17 :: v_dual_add_nc_u32 v38, 0x284, v138
	s_delay_alu instid0(VALU_DEP_3) | instskip(NEXT) | instid1(VALU_DEP_4)
	v_lshlrev_b64_e32 v[10:11], 4, v[10:11]
	v_mad_co_u64_u32 v[16:17], null, s9, v19, v[14:15]
	s_delay_alu instid0(VALU_DEP_4) | instskip(NEXT) | instid1(VALU_DEP_4)
	v_add_co_u32 v8, s0, v44, v8
	v_lshlrev_b64_e32 v[12:13], 4, v[12:13]
	v_mov_b32_e32 v14, v25
	s_wait_alu 0xf1ff
	v_add_co_ci_u32_e64 v9, s0, v45, v9, s0
	v_lshlrev_b64_e32 v[15:16], 4, v[15:16]
	v_add_co_u32 v10, s0, v44, v10
	s_wait_alu 0xf1ff
	v_add_co_ci_u32_e64 v11, s0, v45, v11, s0
	s_clause 0x1
	global_load_b128 v[0:3], v[0:1], off
	global_load_b128 v[4:7], v[6:7], off
	v_mad_co_u64_u32 v[17:18], null, s9, v85, v[14:15]
	v_add_co_u32 v18, s0, v44, v12
	v_mov_b32_e32 v12, v27
	s_wait_alu 0xf1ff
	v_add_co_ci_u32_e64 v19, s0, v45, v13, s0
	v_add_co_u32 v27, s0, v44, v15
	s_delay_alu instid0(VALU_DEP_3)
	v_mad_co_u64_u32 v[29:30], null, s9, v20, v[12:13]
	v_mov_b32_e32 v25, v17
	s_wait_alu 0xf1ff
	v_add_co_ci_u32_e64 v28, s0, v45, v16, s0
	s_clause 0x3
	global_load_b128 v[12:15], v[8:9], off
	global_load_b128 v[20:23], v[10:11], off
	global_load_b128 v[8:11], v[18:19], off
	global_load_b128 v[16:19], v[27:28], off
	v_mov_b32_e32 v28, v33
	v_lshlrev_b64_e32 v[24:25], 4, v[24:25]
	v_mov_b32_e32 v27, v29
	v_mad_co_u64_u32 v[34:35], null, s8, v38, 0
	s_delay_alu instid0(VALU_DEP_4) | instskip(NEXT) | instid1(VALU_DEP_3)
	v_mad_co_u64_u32 v[28:29], null, s9, v84, v[28:29]
	v_lshlrev_b64_e32 v[26:27], 4, v[26:27]
	v_add_co_u32 v24, s0, v44, v24
	s_wait_alu 0xf1ff
	v_add_co_ci_u32_e64 v25, s0, v45, v25, s0
	v_mov_b32_e32 v29, v35
	s_delay_alu instid0(VALU_DEP_4) | instskip(SKIP_3) | instid1(VALU_DEP_2)
	v_add_co_u32 v30, s0, v44, v26
	s_wait_alu 0xf1ff
	v_add_co_ci_u32_e64 v31, s0, v45, v27, s0
	s_mov_b32 s2, exec_lo
	v_mad_co_u64_u32 v[38:39], null, s9, v38, v[29:30]
	v_mad_co_u64_u32 v[39:40], null, s8, v43, 0
                                        ; implicit-def: $vgpr62_vgpr63
	s_delay_alu instid0(VALU_DEP_2) | instskip(SKIP_1) | instid1(VALU_DEP_3)
	v_mov_b32_e32 v35, v38
	v_mad_co_u64_u32 v[37:38], null, s9, v78, v[37:38]
	v_mov_b32_e32 v38, v40
	s_delay_alu instid0(VALU_DEP_3) | instskip(NEXT) | instid1(VALU_DEP_2)
	v_lshlrev_b64_e32 v[34:35], 4, v[34:35]
	v_mad_co_u64_u32 v[46:47], null, s9, v43, v[38:39]
	v_mov_b32_e32 v38, v42
	v_mad_co_u64_u32 v[47:48], null, s8, v49, 0
	v_mov_b32_e32 v33, v28
	v_lshlrev_b64_e32 v[36:37], 4, v[36:37]
	s_delay_alu instid0(VALU_DEP_4)
	v_mad_co_u64_u32 v[42:43], null, s9, v79, v[38:39]
	v_mov_b32_e32 v40, v46
	s_clause 0x1
	global_load_b128 v[24:27], v[24:25], off
	global_load_b128 v[28:31], v[30:31], off
	v_mov_b32_e32 v38, v48
	v_lshlrev_b64_e32 v[32:33], 4, v[32:33]
	s_delay_alu instid0(VALU_DEP_2) | instskip(NEXT) | instid1(VALU_DEP_2)
	v_mad_co_u64_u32 v[48:49], null, s9, v49, v[38:39]
	v_add_co_u32 v32, s0, v44, v32
	s_wait_alu 0xf1ff
	s_delay_alu instid0(VALU_DEP_3)
	v_add_co_ci_u32_e64 v33, s0, v45, v33, s0
	v_add_co_u32 v34, s0, v44, v34
	v_lshlrev_b64_e32 v[38:39], 4, v[39:40]
	s_wait_alu 0xf1ff
	v_add_co_ci_u32_e64 v35, s0, v45, v35, s0
	v_add_co_u32 v36, s0, v44, v36
	s_wait_alu 0xf1ff
	v_add_co_ci_u32_e64 v37, s0, v45, v37, s0
	v_lshlrev_b64_e32 v[40:41], 4, v[41:42]
	v_add_co_u32 v49, s0, v44, v38
	s_wait_alu 0xf1ff
	v_add_co_ci_u32_e64 v50, s0, v45, v39, s0
	v_lshlrev_b64_e32 v[38:39], 4, v[47:48]
	s_delay_alu instid0(VALU_DEP_4) | instskip(SKIP_2) | instid1(VALU_DEP_3)
	v_add_co_u32 v46, s0, v44, v40
	s_wait_alu 0xf1ff
	v_add_co_ci_u32_e64 v47, s0, v45, v41, s0
	v_add_co_u32 v58, s0, v44, v38
	s_wait_alu 0xf1ff
	v_add_co_ci_u32_e64 v59, s0, v45, v39, s0
	s_clause 0x5
	global_load_b128 v[40:43], v[32:33], off
	global_load_b128 v[54:57], v[34:35], off
	;; [unrolled: 1-line block ×6, first 2 shown]
                                        ; implicit-def: $vgpr58_vgpr59
	v_cmpx_gt_u32_e32 28, v138
	s_cbranch_execz .LBB0_14
; %bb.13:
	v_add_nc_u32_e32 v62, 0x188, v138
	v_add_nc_u32_e32 v64, 0x32c, v138
	s_delay_alu instid0(VALU_DEP_2) | instskip(NEXT) | instid1(VALU_DEP_2)
	v_mad_co_u64_u32 v[58:59], null, s8, v62, 0
	v_mad_co_u64_u32 v[60:61], null, s8, v64, 0
	s_delay_alu instid0(VALU_DEP_1) | instskip(NEXT) | instid1(VALU_DEP_1)
	v_mad_co_u64_u32 v[62:63], null, s9, v62, v[59:60]
	v_mov_b32_e32 v59, v62
	s_delay_alu instid0(VALU_DEP_3) | instskip(NEXT) | instid1(VALU_DEP_2)
	v_mad_co_u64_u32 v[63:64], null, s9, v64, v[61:62]
	v_lshlrev_b64_e32 v[58:59], 4, v[58:59]
	s_delay_alu instid0(VALU_DEP_2) | instskip(NEXT) | instid1(VALU_DEP_2)
	v_mov_b32_e32 v61, v63
	v_add_co_u32 v58, s0, v44, v58
	s_wait_alu 0xf1ff
	s_delay_alu instid0(VALU_DEP_3) | instskip(NEXT) | instid1(VALU_DEP_3)
	v_add_co_ci_u32_e64 v59, s0, v45, v59, s0
	v_lshlrev_b64_e32 v[60:61], 4, v[60:61]
	s_delay_alu instid0(VALU_DEP_1) | instskip(SKIP_1) | instid1(VALU_DEP_2)
	v_add_co_u32 v44, s0, v44, v60
	s_wait_alu 0xf1ff
	v_add_co_ci_u32_e64 v45, s0, v45, v61, s0
	s_clause 0x1
	global_load_b128 v[58:61], v[58:59], off
	global_load_b128 v[62:65], v[44:45], off
.LBB0_14:
	s_wait_alu 0xfffe
	s_or_b32 exec_lo, exec_lo, s2
	v_mov_b32_e32 v92, v140
.LBB0_15:
	s_or_b32 exec_lo, exec_lo, s1
	s_wait_loadcnt 0xc
	v_add_f64_e64 v[68:69], v[0:1], -v[4:5]
	s_wait_loadcnt 0x0
	v_add_f64_e64 v[103:104], v[32:33], -v[46:47]
	v_add_f64_e64 v[46:47], v[58:59], -v[62:63]
	;; [unrolled: 1-line block ×7, first 2 shown]
	v_add_nc_u32_e32 v80, 0x188, v138
	v_lshl_add_u32 v20, v139, 4, 0
	v_lshl_add_u32 v28, v85, 4, 0
	;; [unrolled: 1-line block ×3, first 2 shown]
	v_cmp_gt_u32_e64 s0, 28, v138
	v_lshl_add_u32 v21, v80, 4, 0
	v_fma_f64 v[66:67], v[0:1], 2.0, -v[68:69]
	v_fma_f64 v[101:102], v[32:33], 2.0, -v[103:104]
	;; [unrolled: 1-line block ×8, first 2 shown]
	v_lshl_add_u32 v25, v138, 4, 0
	v_lshl_add_u32 v24, v92, 4, 0
	;; [unrolled: 1-line block ×4, first 2 shown]
	ds_store_b128 v25, v[66:69]
	ds_store_b128 v24, v[70:73]
	;; [unrolled: 1-line block ×7, first 2 shown]
	s_and_saveexec_b32 s1, s0
	s_cbranch_execz .LBB0_17
; %bb.16:
	ds_store_b128 v21, v[44:47]
.LBB0_17:
	s_wait_alu 0xfffe
	s_or_b32 exec_lo, exec_lo, s1
	v_lshlrev_b32_e32 v0, 3, v138
	v_lshlrev_b32_e32 v58, 3, v139
	v_lshlrev_b32_e32 v62, 3, v85
	v_lshlrev_b32_e32 v63, 3, v84
	v_lshlrev_b32_e32 v81, 3, v78
	v_sub_nc_u32_e32 v93, v25, v0
	v_sub_nc_u32_e32 v0, v20, v58
	v_lshlrev_b32_e32 v82, 3, v79
	global_wb scope:SCOPE_SE
	s_wait_dscnt 0x0
	s_barrier_signal -1
	v_add_nc_u32_e32 v1, 0x800, v93
	s_barrier_wait -1
	v_lshlrev_b32_e32 v59, 3, v92
	global_inv scope:SCOPE_SE
	ds_load_b64 v[12:13], v93
	ds_load_b64 v[8:9], v0
	v_add_nc_u32_e32 v0, 0x1000, v93
	ds_load_2addr_b64 v[66:69], v1 offset0:164 offset1:220
	v_sub_nc_u32_e32 v1, v28, v62
	v_sub_nc_u32_e32 v5, v33, v63
	v_sub_nc_u32_e32 v40, v32, v81
	v_sub_nc_u32_e32 v50, v29, v82
	v_sub_nc_u32_e32 v4, v24, v59
	ds_load_2addr_b64 v[70:73], v0 offset0:20 offset1:76
	ds_load_2addr_b64 v[74:77], v0 offset0:132 offset1:188
	ds_load_b64 v[16:17], v1
	ds_load_b64 v[36:37], v5
	;; [unrolled: 1-line block ×5, first 2 shown]
	ds_load_b64 v[0:1], v93 offset:6048
	s_and_saveexec_b32 s1, s0
	s_cbranch_execz .LBB0_19
; %bb.18:
	ds_load_b64 v[44:45], v93 offset:3136
	ds_load_b64 v[46:47], v93 offset:6496
.LBB0_19:
	s_wait_alu 0xfffe
	s_or_b32 exec_lo, exec_lo, s1
	v_add_f64_e64 v[88:89], v[2:3], -v[6:7]
	v_add_f64_e64 v[4:5], v[60:61], -v[64:65]
	;; [unrolled: 1-line block ×8, first 2 shown]
	v_sub_nc_u32_e32 v7, 0, v81
	v_sub_nc_u32_e32 v6, 0, v82
	global_wb scope:SCOPE_SE
	s_wait_dscnt 0x0
	s_barrier_signal -1
	s_barrier_wait -1
	global_inv scope:SCOPE_SE
	v_fma_f64 v[86:87], v[2:3], 2.0, -v[88:89]
	v_fma_f64 v[2:3], v[60:61], 2.0, -v[4:5]
	;; [unrolled: 1-line block ×8, first 2 shown]
	v_sub_nc_u32_e32 v14, 0, v59
	v_sub_nc_u32_e32 v15, 0, v58
	;; [unrolled: 1-line block ×4, first 2 shown]
	ds_store_b128 v25, v[86:89]
	ds_store_b128 v24, v[94:97]
	;; [unrolled: 1-line block ×7, first 2 shown]
	s_and_saveexec_b32 s1, s0
	s_cbranch_execz .LBB0_21
; %bb.20:
	ds_store_b128 v21, v[2:5]
.LBB0_21:
	s_wait_alu 0xfffe
	s_or_b32 exec_lo, exec_lo, s1
	v_add_nc_u32_e32 v94, v20, v15
	v_add_nc_u32_e32 v15, 0x1000, v93
	;; [unrolled: 1-line block ×7, first 2 shown]
	global_wb scope:SCOPE_SE
	s_wait_dscnt 0x0
	s_barrier_signal -1
	s_barrier_wait -1
	global_inv scope:SCOPE_SE
	ds_load_b64 v[42:43], v93
	ds_load_2addr_b64 v[18:21], v18 offset0:164 offset1:220
	v_add_nc_u32_e32 v95, v24, v14
	ds_load_b64 v[48:49], v94
	ds_load_2addr_b64 v[22:25], v15 offset0:20 offset1:76
	ds_load_2addr_b64 v[26:29], v15 offset0:132 offset1:188
	ds_load_b64 v[52:53], v86
	ds_load_b64 v[56:57], v88
	;; [unrolled: 1-line block ×5, first 2 shown]
	ds_load_b64 v[64:65], v93 offset:6048
	v_lshlrev_b32_e32 v102, 1, v138
	v_lshlrev_b32_e32 v101, 1, v92
	;; [unrolled: 1-line block ×7, first 2 shown]
	s_and_saveexec_b32 s1, s0
	s_cbranch_execz .LBB0_23
; %bb.22:
	ds_load_b64 v[2:3], v93 offset:3136
	ds_load_b64 v[4:5], v93 offset:6496
.LBB0_23:
	s_wait_alu 0xfffe
	s_or_b32 exec_lo, exec_lo, s1
	v_and_b32_e32 v103, 1, v138
	v_lshlrev_b32_e32 v90, 1, v80
	s_delay_alu instid0(VALU_DEP_2)
	v_lshlrev_b32_e32 v6, 4, v103
	v_and_or_b32 v80, 0x1fc, v100, v103
	v_and_or_b32 v83, 0x1fc, v99, v103
	;; [unrolled: 1-line block ×4, first 2 shown]
	global_load_b128 v[30:33], v6, s[4:5]
	v_and_or_b32 v110, 0x3fc, v91, v103
	v_lshl_add_u32 v106, v80, 3, 0
	v_lshl_add_u32 v107, v83, 3, 0
	;; [unrolled: 1-line block ×5, first 2 shown]
	global_wb scope:SCOPE_SE
	s_wait_loadcnt_dscnt 0x0
	s_barrier_signal -1
	s_barrier_wait -1
	global_inv scope:SCOPE_SE
	v_mul_f64_e32 v[6:7], v[18:19], v[32:33]
	v_mul_f64_e32 v[34:35], v[24:25], v[32:33]
	;; [unrolled: 1-line block ×8, first 2 shown]
	v_fma_f64 v[6:7], v[66:67], v[30:31], -v[6:7]
	v_fma_f64 v[34:35], v[72:73], v[30:31], -v[34:35]
	;; [unrolled: 1-line block ×8, first 2 shown]
	v_add_f64_e64 v[6:7], v[12:13], -v[6:7]
	v_add_f64_e64 v[111:112], v[16:17], -v[34:35]
	;; [unrolled: 1-line block ×8, first 2 shown]
	v_fma_f64 v[12:13], v[12:13], 2.0, -v[6:7]
	v_fma_f64 v[16:17], v[16:17], 2.0, -v[111:112]
	;; [unrolled: 1-line block ×8, first 2 shown]
	v_and_or_b32 v44, 0x7c, v102, v103
	v_and_or_b32 v45, 0xfc, v101, v103
	s_delay_alu instid0(VALU_DEP_2) | instskip(NEXT) | instid1(VALU_DEP_2)
	v_lshl_add_u32 v104, v44, 3, 0
	v_lshl_add_u32 v105, v45, 3, 0
	ds_store_2addr_b64 v104, v[12:13], v[6:7] offset1:2
	ds_store_2addr_b64 v105, v[54:55], v[10:11] offset1:2
	ds_store_2addr_b64 v106, v[8:9], v[14:15] offset1:2
	ds_store_2addr_b64 v107, v[16:17], v[111:112] offset1:2
	ds_store_2addr_b64 v108, v[113:114], v[38:39] offset1:2
	ds_store_2addr_b64 v109, v[40:41], v[78:79] offset1:2
	ds_store_2addr_b64 v110, v[50:51], v[81:82] offset1:2
	s_and_saveexec_b32 s1, s0
	s_cbranch_execz .LBB0_25
; %bb.24:
	v_and_or_b32 v6, 0x37c, v90, v103
	s_delay_alu instid0(VALU_DEP_1)
	v_lshl_add_u32 v6, v6, 3, 0
	ds_store_2addr_b64 v6, v[36:37], v[34:35] offset1:2
.LBB0_25:
	s_wait_alu 0xfffe
	s_or_b32 exec_lo, exec_lo, s1
	v_add_nc_u32_e32 v6, 0x800, v93
	v_add_nc_u32_e32 v7, 0x1000, v93
	global_wb scope:SCOPE_SE
	s_wait_dscnt 0x0
	s_barrier_signal -1
	s_barrier_wait -1
	global_inv scope:SCOPE_SE
	ds_load_b64 v[40:41], v93
	ds_load_2addr_b64 v[14:17], v6 offset0:164 offset1:220
	ds_load_b64 v[44:45], v94
	ds_load_2addr_b64 v[10:13], v7 offset0:20 offset1:76
	ds_load_2addr_b64 v[6:9], v7 offset0:132 offset1:188
	ds_load_b64 v[50:51], v86
	ds_load_b64 v[54:55], v88
	;; [unrolled: 1-line block ×5, first 2 shown]
	ds_load_b64 v[38:39], v93 offset:6048
	v_lshl_add_u32 v96, v138, 3, 0
	s_and_saveexec_b32 s1, s0
	s_cbranch_execz .LBB0_27
; %bb.26:
	ds_load_b64 v[36:37], v96 offset:3136
	ds_load_b64 v[34:35], v93 offset:6496
.LBB0_27:
	s_wait_alu 0xfffe
	s_or_b32 exec_lo, exec_lo, s1
	v_mul_f64_e32 v[66:67], v[66:67], v[32:33]
	v_mul_f64_e32 v[68:69], v[68:69], v[32:33]
	;; [unrolled: 1-line block ×8, first 2 shown]
	global_wb scope:SCOPE_SE
	s_wait_dscnt 0x0
	s_barrier_signal -1
	s_barrier_wait -1
	global_inv scope:SCOPE_SE
	v_fma_f64 v[18:19], v[18:19], v[30:31], v[66:67]
	v_fma_f64 v[20:21], v[20:21], v[30:31], v[68:69]
	;; [unrolled: 1-line block ×8, first 2 shown]
	v_add_f64_e64 v[18:19], v[42:43], -v[18:19]
	v_add_f64_e64 v[20:21], v[62:63], -v[20:21]
	;; [unrolled: 1-line block ×8, first 2 shown]
	v_fma_f64 v[4:5], v[42:43], 2.0, -v[18:19]
	v_fma_f64 v[42:43], v[62:63], 2.0, -v[20:21]
	;; [unrolled: 1-line block ×8, first 2 shown]
	ds_store_2addr_b64 v104, v[4:5], v[18:19] offset1:2
	ds_store_2addr_b64 v105, v[42:43], v[20:21] offset1:2
	;; [unrolled: 1-line block ×7, first 2 shown]
	s_and_saveexec_b32 s1, s0
	s_cbranch_execz .LBB0_29
; %bb.28:
	v_and_or_b32 v0, 0x37c, v90, v103
	s_delay_alu instid0(VALU_DEP_1)
	v_lshl_add_u32 v0, v0, 3, 0
	ds_store_2addr_b64 v0, v[30:31], v[32:33] offset1:2
.LBB0_29:
	s_wait_alu 0xfffe
	s_or_b32 exec_lo, exec_lo, s1
	v_add_nc_u32_e32 v0, 0x800, v93
	v_add_nc_u32_e32 v1, 0x1000, v93
	global_wb scope:SCOPE_SE
	s_wait_dscnt 0x0
	s_barrier_signal -1
	s_barrier_wait -1
	global_inv scope:SCOPE_SE
	ds_load_b64 v[42:43], v93
	ds_load_2addr_b64 v[2:5], v0 offset0:164 offset1:220
	ds_load_b64 v[46:47], v94
	ds_load_2addr_b64 v[18:21], v1 offset0:20 offset1:76
	ds_load_2addr_b64 v[22:25], v1 offset0:132 offset1:188
	ds_load_b64 v[48:49], v86
	ds_load_b64 v[52:53], v88
	;; [unrolled: 1-line block ×5, first 2 shown]
	ds_load_b64 v[62:63], v93 offset:6048
	s_and_saveexec_b32 s1, s0
	s_cbranch_execz .LBB0_31
; %bb.30:
	ds_load_b64 v[30:31], v96 offset:3136
	ds_load_b64 v[32:33], v93 offset:6496
.LBB0_31:
	s_wait_alu 0xfffe
	s_or_b32 exec_lo, exec_lo, s1
	v_and_b32_e32 v64, 3, v138
	s_delay_alu instid0(VALU_DEP_1)
	v_lshlrev_b32_e32 v0, 4, v64
	global_load_b128 v[26:29], v0, s[4:5] offset:32
	global_wb scope:SCOPE_SE
	s_wait_loadcnt_dscnt 0x0
	s_barrier_signal -1
	s_barrier_wait -1
	global_inv scope:SCOPE_SE
	v_mul_f64_e32 v[0:1], v[2:3], v[28:29]
	v_mul_f64_e32 v[65:66], v[4:5], v[28:29]
	v_mul_f64_e32 v[67:68], v[18:19], v[28:29]
	v_mul_f64_e32 v[69:70], v[20:21], v[28:29]
	v_mul_f64_e32 v[71:72], v[22:23], v[28:29]
	v_mul_f64_e32 v[73:74], v[24:25], v[28:29]
	v_mul_f64_e32 v[75:76], v[62:63], v[28:29]
	v_mul_f64_e32 v[103:104], v[32:33], v[28:29]
	v_fma_f64 v[0:1], v[14:15], v[26:27], -v[0:1]
	v_fma_f64 v[65:66], v[16:17], v[26:27], -v[65:66]
	v_fma_f64 v[67:68], v[10:11], v[26:27], -v[67:68]
	v_fma_f64 v[69:70], v[12:13], v[26:27], -v[69:70]
	v_fma_f64 v[71:72], v[6:7], v[26:27], -v[71:72]
	v_fma_f64 v[73:74], v[8:9], v[26:27], -v[73:74]
	v_fma_f64 v[75:76], v[38:39], v[26:27], -v[75:76]
	v_add_f64_e64 v[105:106], v[40:41], -v[0:1]
	v_fma_f64 v[0:1], v[34:35], v[26:27], -v[103:104]
	v_add_f64_e64 v[65:66], v[82:83], -v[65:66]
	v_add_f64_e64 v[67:68], v[44:45], -v[67:68]
	;; [unrolled: 1-line block ×6, first 2 shown]
	v_fma_f64 v[103:104], v[40:41], 2.0, -v[105:106]
	v_add_f64_e64 v[0:1], v[36:37], -v[0:1]
	v_fma_f64 v[82:83], v[82:83], 2.0, -v[65:66]
	v_fma_f64 v[107:108], v[44:45], 2.0, -v[67:68]
	;; [unrolled: 1-line block ×6, first 2 shown]
	v_and_or_b32 v40, 0x78, v102, v64
	v_and_or_b32 v41, 0xf8, v101, v64
	;; [unrolled: 1-line block ×7, first 2 shown]
	v_lshl_add_u32 v40, v40, 3, 0
	v_lshl_add_u32 v41, v41, 3, 0
	;; [unrolled: 1-line block ×7, first 2 shown]
	ds_store_2addr_b64 v40, v[103:104], v[105:106] offset1:4
	ds_store_2addr_b64 v41, v[82:83], v[65:66] offset1:4
	;; [unrolled: 1-line block ×7, first 2 shown]
	s_and_saveexec_b32 s1, s0
	s_cbranch_execz .LBB0_33
; %bb.32:
	v_fma_f64 v[36:37], v[36:37], 2.0, -v[0:1]
	v_and_or_b32 v55, 0x378, v90, v64
	s_delay_alu instid0(VALU_DEP_1)
	v_lshl_add_u32 v55, v55, 3, 0
	ds_store_2addr_b64 v55, v[36:37], v[0:1] offset1:4
.LBB0_33:
	s_wait_alu 0xfffe
	s_or_b32 exec_lo, exec_lo, s1
	v_mul_f64_e32 v[14:15], v[14:15], v[28:29]
	v_mul_f64_e32 v[16:17], v[16:17], v[28:29]
	;; [unrolled: 1-line block ×7, first 2 shown]
	global_wb scope:SCOPE_SE
	s_wait_dscnt 0x0
	s_barrier_signal -1
	s_barrier_wait -1
	global_inv scope:SCOPE_SE
	v_fma_f64 v[2:3], v[2:3], v[26:27], v[14:15]
	v_fma_f64 v[4:5], v[4:5], v[26:27], v[16:17]
	v_mul_f64_e32 v[16:17], v[34:35], v[28:29]
	v_fma_f64 v[10:11], v[18:19], v[26:27], v[10:11]
	v_fma_f64 v[12:13], v[20:21], v[26:27], v[12:13]
	;; [unrolled: 1-line block ×5, first 2 shown]
	v_add_nc_u32_e32 v36, 0x1000, v93
	v_add_nc_u32_e32 v37, 0x800, v93
	v_add_f64_e64 v[38:39], v[42:43], -v[2:3]
	v_add_f64_e64 v[62:63], v[60:61], -v[4:5]
	v_fma_f64 v[2:3], v[32:33], v[26:27], v[16:17]
	v_add_f64_e64 v[65:66], v[46:47], -v[10:11]
	v_add_f64_e64 v[67:68], v[48:49], -v[12:13]
	;; [unrolled: 1-line block ×5, first 2 shown]
	v_fma_f64 v[42:43], v[42:43], 2.0, -v[38:39]
	v_fma_f64 v[60:61], v[60:61], 2.0, -v[62:63]
	v_add_f64_e64 v[4:5], v[30:31], -v[2:3]
	v_fma_f64 v[46:47], v[46:47], 2.0, -v[65:66]
	v_fma_f64 v[48:49], v[48:49], 2.0, -v[67:68]
	;; [unrolled: 1-line block ×5, first 2 shown]
	ds_load_b64 v[2:3], v93
	ds_load_b64 v[22:23], v94
	;; [unrolled: 1-line block ×6, first 2 shown]
	ds_load_b64 v[32:33], v93 offset:6272
	ds_load_2addr_b64 v[18:21], v36 offset0:48 offset1:104
	ds_load_2addr_b64 v[14:17], v37 offset0:80 offset1:136
	;; [unrolled: 1-line block ×4, first 2 shown]
	global_wb scope:SCOPE_SE
	s_wait_dscnt 0x0
	s_barrier_signal -1
	s_barrier_wait -1
	global_inv scope:SCOPE_SE
	ds_store_2addr_b64 v40, v[42:43], v[38:39] offset1:4
	ds_store_2addr_b64 v41, v[60:61], v[62:63] offset1:4
	;; [unrolled: 1-line block ×7, first 2 shown]
	s_and_saveexec_b32 s1, s0
	s_cbranch_execz .LBB0_35
; %bb.34:
	v_fma_f64 v[30:31], v[30:31], 2.0, -v[4:5]
	v_and_or_b32 v38, 0x378, v90, v64
	s_delay_alu instid0(VALU_DEP_1)
	v_lshl_add_u32 v38, v38, 3, 0
	ds_store_2addr_b64 v38, v[30:31], v[4:5] offset1:4
.LBB0_35:
	s_wait_alu 0xfffe
	s_or_b32 exec_lo, exec_lo, s1
	v_and_b32_e32 v30, 7, v138
	global_wb scope:SCOPE_SE
	s_wait_dscnt 0x0
	s_barrier_signal -1
	s_barrier_wait -1
	global_inv scope:SCOPE_SE
	v_lshlrev_b32_e32 v31, 5, v30
	s_mov_b32 s0, 0xe8584caa
	s_mov_b32 s1, 0x3febb67a
	;; [unrolled: 1-line block ×3, first 2 shown]
	s_wait_alu 0xfffe
	s_mov_b32 s2, s0
	s_clause 0x1
	global_load_b128 v[38:41], v31, s[4:5] offset:96
	global_load_b128 v[42:45], v31, s[4:5] offset:112
	ds_load_b64 v[62:63], v89
	ds_load_2addr_b64 v[46:49], v36 offset0:48 offset1:104
	ds_load_2addr_b64 v[50:53], v37 offset0:80 offset1:136
	;; [unrolled: 1-line block ×4, first 2 shown]
	ds_load_b64 v[64:65], v93 offset:6272
	ds_load_b64 v[66:67], v95
	ds_load_b64 v[68:69], v93
	;; [unrolled: 1-line block ×3, first 2 shown]
	s_mov_b32 s7, 0xbfee6f0e
	s_mov_b32 s12, 0x4755a5e
	;; [unrolled: 1-line block ×7, first 2 shown]
	s_wait_loadcnt_dscnt 0x108
	v_mul_f64_e32 v[72:73], v[62:63], v[40:41]
	s_wait_loadcnt_dscnt 0x7
	v_mul_f64_e32 v[74:75], v[46:47], v[44:45]
	s_wait_dscnt 0x6
	v_mul_f64_e32 v[76:77], v[50:51], v[40:41]
	v_mul_f64_e32 v[78:79], v[48:49], v[44:45]
	;; [unrolled: 1-line block ×3, first 2 shown]
	s_wait_dscnt 0x5
	v_mul_f64_e32 v[82:83], v[54:55], v[44:45]
	s_wait_dscnt 0x4
	v_mul_f64_e32 v[97:98], v[60:61], v[40:41]
	;; [unrolled: 2-line block ×3, first 2 shown]
	v_mul_f64_e32 v[101:102], v[34:35], v[40:41]
	v_mul_f64_e32 v[103:104], v[18:19], v[44:45]
	;; [unrolled: 1-line block ×12, first 2 shown]
	v_fma_f64 v[34:35], v[34:35], v[38:39], -v[72:73]
	v_fma_f64 v[18:19], v[18:19], v[42:43], -v[74:75]
	;; [unrolled: 1-line block ×8, first 2 shown]
	v_fma_f64 v[62:63], v[62:63], v[38:39], v[101:102]
	v_fma_f64 v[46:47], v[46:47], v[42:43], v[103:104]
	v_fma_f64 v[50:51], v[50:51], v[38:39], v[105:106]
	v_fma_f64 v[48:49], v[48:49], v[42:43], v[107:108]
	v_fma_f64 v[6:7], v[6:7], v[38:39], -v[88:89]
	v_fma_f64 v[11:12], v[12:13], v[42:43], -v[90:91]
	v_fma_f64 v[52:53], v[52:53], v[38:39], v[109:110]
	v_fma_f64 v[54:55], v[54:55], v[42:43], v[111:112]
	v_fma_f64 v[58:59], v[58:59], v[38:39], v[113:114]
	v_fma_f64 v[56:57], v[56:57], v[42:43], v[115:116]
	v_fma_f64 v[38:39], v[60:61], v[38:39], v[40:41]
	v_fma_f64 v[40:41], v[64:65], v[42:43], v[44:45]
	v_lshrrev_b32_e32 v82, 3, v84
	v_and_b32_e32 v83, 0xff, v92
	ds_load_b64 v[74:75], v94
	ds_load_b64 v[76:77], v86
	v_lshrrev_b32_e32 v33, 3, v139
	v_lshrrev_b32_e32 v10, 3, v138
	v_mul_lo_u32 v113, v82, 24
	v_mul_lo_u16 v114, 0xab, v83
	v_lshrrev_b32_e32 v80, 3, v85
	v_mul_lo_u32 v33, v33, 24
	v_and_b32_e32 v81, 0xff, v138
	v_and_b32_e32 v84, 0xff, v139
	v_mul_u32_u24_e32 v111, 24, v10
	v_mul_lo_u32 v112, v80, 24
	v_lshrrev_b32_e32 v13, 3, v92
	v_mul_lo_u16 v10, 0xab, v81
	v_mul_lo_u16 v115, 0xab, v84
	v_or_b32_e32 v113, v113, v30
	global_wb scope:SCOPE_SE
	s_wait_dscnt 0x0
	v_add_f64_e32 v[80:81], v[2:3], v[34:35]
	v_add_f64_e32 v[42:43], v[34:35], v[18:19]
	;; [unrolled: 1-line block ×8, first 2 shown]
	v_add_f64_e64 v[14:15], v[14:15], -v[20:21]
	v_add_f64_e32 v[82:83], v[62:63], v[46:47]
	v_add_f64_e64 v[84:85], v[62:63], -v[46:47]
	v_add_f64_e32 v[88:89], v[50:51], v[48:49]
	v_add_f64_e64 v[109:110], v[50:51], -v[48:49]
	v_add_f64_e32 v[64:65], v[6:7], v[11:12]
	v_add_f64_e32 v[62:63], v[68:69], v[62:63]
	v_add_f64_e32 v[97:98], v[52:53], v[54:55]
	;; [unrolled: 1-line block ×6, first 2 shown]
	v_add_f64_e64 v[16:17], v[16:17], -v[72:73]
	v_add_f64_e64 v[6:7], v[6:7], -v[11:12]
	;; [unrolled: 1-line block ×3, first 2 shown]
	v_mul_lo_u32 v13, v13, 24
	v_or_b32_e32 v112, v112, v30
	v_lshrrev_b16 v10, 12, v10
	s_barrier_signal -1
	s_barrier_wait -1
	global_inv scope:SCOPE_SE
	v_or_b32_e32 v13, v13, v30
	v_fma_f64 v[42:43], v[42:43], -0.5, v[2:3]
	v_add_f64_e32 v[20:21], v[90:91], v[20:21]
	v_fma_f64 v[28:29], v[44:45], -0.5, v[28:29]
	v_add_f64_e64 v[44:45], v[52:53], -v[54:55]
	v_fma_f64 v[22:23], v[60:61], -0.5, v[22:23]
	v_add_f64_e64 v[60:61], v[58:59], -v[56:57]
	v_fma_f64 v[26:27], v[78:79], -0.5, v[26:27]
	v_or_b32_e32 v78, v111, v30
	v_or_b32_e32 v111, v33, v30
	v_add_f64_e64 v[33:34], v[34:35], -v[18:19]
	v_add_f64_e32 v[52:53], v[74:75], v[52:53]
	v_add_f64_e32 v[58:59], v[76:77], v[58:59]
	v_fma_f64 v[68:69], v[82:83], -0.5, v[68:69]
	v_fma_f64 v[66:67], v[88:89], -0.5, v[66:67]
	;; [unrolled: 1-line block ×3, first 2 shown]
	v_add_f64_e64 v[64:65], v[38:39], -v[40:41]
	v_fma_f64 v[74:75], v[97:98], -0.5, v[74:75]
	v_fma_f64 v[76:77], v[101:102], -0.5, v[76:77]
	v_add_f64_e32 v[38:39], v[70:71], v[38:39]
	v_fma_f64 v[70:71], v[105:106], -0.5, v[70:71]
	v_add_f64_e32 v[18:19], v[80:81], v[18:19]
	v_add_f64_e32 v[46:47], v[62:63], v[46:47]
	;; [unrolled: 1-line block ×4, first 2 shown]
	v_lshrrev_b16 v2, 12, v115
	v_lshl_add_u32 v115, v78, 3, 0
	v_add_f64_e32 v[78:79], v[103:104], v[11:12]
	v_add_f64_e32 v[30:31], v[107:108], v[31:32]
	v_lshrrev_b16 v3, 12, v114
	v_mul_lo_u16 v114, v10, 24
	v_mul_lo_u16 v12, v2, 24
	v_lshl_add_u32 v90, v13, 3, 0
	v_lshl_add_u32 v91, v111, 3, 0
	v_mul_lo_u16 v11, v3, 24
	v_sub_nc_u16 v32, v138, v114
	v_sub_nc_u16 v35, v139, v12
	v_lshl_add_u32 v97, v112, 3, 0
	v_lshl_add_u32 v98, v113, 3, 0
	v_fma_f64 v[80:81], v[84:85], s[0:1], v[42:43]
	s_wait_alu 0xfffe
	v_fma_f64 v[42:43], v[84:85], s[2:3], v[42:43]
	v_fma_f64 v[82:83], v[109:110], s[0:1], v[28:29]
	;; [unrolled: 1-line block ×5, first 2 shown]
	v_sub_nc_u16 v13, v92, v11
	v_and_b32_e32 v11, 0xff, v32
	v_and_b32_e32 v10, 0xffff, v10
	;; [unrolled: 1-line block ×3, first 2 shown]
	v_add_f64_e32 v[50:51], v[52:53], v[54:55]
	v_add_f64_e32 v[52:53], v[58:59], v[56:57]
	v_fma_f64 v[56:57], v[33:34], s[2:3], v[68:69]
	v_fma_f64 v[58:59], v[33:34], s[0:1], v[68:69]
	;; [unrolled: 1-line block ×12, first 2 shown]
	v_add_f64_e32 v[54:55], v[38:39], v[40:41]
	v_fma_f64 v[68:69], v[8:9], s[2:3], v[70:71]
	v_fma_f64 v[8:9], v[8:9], s[0:1], v[70:71]
	v_lshlrev_b32_e32 v99, 6, v11
	v_and_b32_e32 v12, 0xff, v13
	v_and_b32_e32 v13, 0xff, v35
	s_mov_b32 s2, 0x134454ff
	s_mov_b32 s3, 0x3fee6f0e
	s_wait_alu 0xfffe
	s_mov_b32 s6, s2
	v_and_b32_e32 v2, 0xffff, v2
	v_mul_u32_u24_e32 v10, 0x3c0, v10
	v_lshlrev_b32_e32 v11, 3, v11
	v_mul_u32_u24_e32 v3, 0x3c0, v3
	v_cmp_gt_u32_e64 s0, 8, v138
	ds_store_2addr_b64 v115, v[18:19], v[80:81] offset1:8
	ds_store_b64 v115, v[42:43] offset:128
	ds_store_2addr_b64 v90, v[20:21], v[82:83] offset1:8
	ds_store_b64 v90, v[28:29] offset:128
	;; [unrolled: 2-line block ×5, first 2 shown]
	global_wb scope:SCOPE_SE
	s_wait_dscnt 0x0
	s_barrier_signal -1
	s_barrier_wait -1
	global_inv scope:SCOPE_SE
	ds_load_2addr_b64 v[24:27], v93 offset1:224
	ds_load_b64 v[22:23], v87
	ds_load_2addr_b64 v[18:21], v37 offset0:192 offset1:248
	ds_load_2addr_b64 v[28:31], v36 offset0:160 offset1:216
	;; [unrolled: 1-line block ×4, first 2 shown]
	ds_load_b64 v[70:71], v86
	ds_load_b64 v[117:118], v94
	;; [unrolled: 1-line block ×3, first 2 shown]
	ds_load_b64 v[88:89], v93 offset:6272
	global_wb scope:SCOPE_SE
	s_wait_dscnt 0x0
	s_barrier_signal -1
	s_barrier_wait -1
	global_inv scope:SCOPE_SE
	ds_store_2addr_b64 v115, v[46:47], v[56:57] offset1:8
	ds_store_b64 v115, v[58:59] offset:128
	ds_store_2addr_b64 v90, v[48:49], v[62:63] offset1:8
	ds_store_b64 v90, v[14:15] offset:128
	;; [unrolled: 2-line block ×5, first 2 shown]
	global_wb scope:SCOPE_SE
	s_wait_dscnt 0x0
	s_barrier_signal -1
	s_barrier_wait -1
	global_inv scope:SCOPE_SE
	s_clause 0x1
	global_load_b128 v[42:45], v99, s[4:5] offset:352
	global_load_b128 v[46:49], v99, s[4:5] offset:368
	v_lshlrev_b32_e32 v6, 6, v12
	v_lshlrev_b32_e32 v7, 6, v13
	s_clause 0x9
	global_load_b128 v[54:57], v99, s[4:5] offset:384
	global_load_b128 v[58:61], v99, s[4:5] offset:400
	;; [unrolled: 1-line block ×10, first 2 shown]
	ds_load_b64 v[14:15], v86
	ds_load_b64 v[50:51], v87
	ds_load_2addr_b64 v[130:133], v37 offset0:192 offset1:248
	ds_load_2addr_b64 v[134:137], v36 offset0:160 offset1:216
	ds_load_2addr_b64 v[6:9], v93 offset1:224
	ds_load_2addr_b64 v[141:144], v37 offset0:24 offset1:136
	ds_load_2addr_b64 v[145:148], v36 offset0:48 offset1:104
	ds_load_b64 v[36:37], v93 offset:6272
	ds_load_b64 v[16:17], v94
	v_lshlrev_b32_e32 v12, 3, v12
	v_mul_u32_u24_e32 v2, 0x3c0, v2
	v_lshlrev_b32_e32 v13, 3, v13
	ds_load_b64 v[52:53], v95
	global_wb scope:SCOPE_SE
	s_wait_loadcnt_dscnt 0x0
	s_barrier_signal -1
	s_barrier_wait -1
	global_inv scope:SCOPE_SE
	v_mul_f64_e32 v[76:77], v[132:133], v[56:57]
	v_mul_f64_e32 v[78:79], v[134:135], v[60:61]
	;; [unrolled: 1-line block ×24, first 2 shown]
	v_fma_f64 v[84:85], v[20:21], v[54:55], -v[76:77]
	v_fma_f64 v[90:91], v[28:29], v[58:59], -v[78:79]
	;; [unrolled: 1-line block ×12, first 2 shown]
	v_fma_f64 v[64:65], v[14:15], v[42:43], v[44:45]
	v_fma_f64 v[18:19], v[134:135], v[58:59], v[60:61]
	;; [unrolled: 1-line block ×12, first 2 shown]
	v_add_f64_e64 v[101:102], v[90:91], -v[84:85]
	v_add_f64_e32 v[40:41], v[149:150], v[76:77]
	v_add_f64_e64 v[105:106], v[84:85], -v[90:91]
	v_add_f64_e32 v[14:15], v[68:69], v[90:91]
	v_add_f64_e32 v[8:9], v[74:75], v[84:85]
	;; [unrolled: 1-line block ×5, first 2 shown]
	v_add_f64_e64 v[99:100], v[68:69], -v[74:75]
	v_add_f64_e32 v[30:31], v[72:73], v[82:83]
	v_add_f64_e32 v[42:43], v[117:118], v[80:81]
	;; [unrolled: 1-line block ×3, first 2 shown]
	v_add_f64_e64 v[103:104], v[74:75], -v[68:69]
	v_add_f64_e64 v[34:35], v[64:65], -v[18:19]
	;; [unrolled: 1-line block ×13, first 2 shown]
	v_add_f64_e32 v[40:41], v[40:41], v[70:71]
	v_fma_f64 v[14:15], v[14:15], -0.5, v[24:25]
	v_fma_f64 v[8:9], v[8:9], -0.5, v[24:25]
	v_add_f64_e64 v[24:25], v[58:59], -v[50:51]
	v_fma_f64 v[26:27], v[26:27], -0.5, v[149:150]
	v_fma_f64 v[28:29], v[28:29], -0.5, v[149:150]
	v_add_f64_e32 v[38:39], v[38:39], v[74:75]
	v_fma_f64 v[30:31], v[30:31], -0.5, v[117:118]
	v_add_f64_e32 v[42:43], v[42:43], v[72:73]
	v_fma_f64 v[32:33], v[32:33], -0.5, v[117:118]
	v_add_f64_e64 v[117:118], v[88:89], -v[82:83]
	v_add_f64_e32 v[99:100], v[99:100], v[101:102]
	v_add_f64_e32 v[101:102], v[103:104], v[105:106]
	v_add_f64_e32 v[105:106], v[111:112], v[113:114]
	v_add_f64_e32 v[103:104], v[107:108], v[109:110]
	v_add_f64_e32 v[109:110], v[122:123], v[124:125]
	v_add_f64_e32 v[40:41], v[40:41], v[78:79]
	s_wait_alu 0xfffe
	v_fma_f64 v[128:129], v[36:37], s[6:7], v[14:15]
	v_fma_f64 v[126:127], v[34:35], s[2:3], v[8:9]
	;; [unrolled: 1-line block ×12, first 2 shown]
	v_add_f64_e32 v[38:39], v[38:39], v[84:85]
	v_add_f64_e32 v[107:108], v[115:116], v[117:118]
	;; [unrolled: 1-line block ×4, first 2 shown]
	v_fma_f64 v[111:112], v[36:37], s[12:13], v[126:127]
	v_fma_f64 v[8:9], v[36:37], s[14:15], v[8:9]
	;; [unrolled: 1-line block ×12, first 2 shown]
	v_add_f64_e32 v[38:39], v[38:39], v[90:91]
	v_add_f64_e32 v[42:43], v[42:43], v[88:89]
	v_add_nc_u32_e32 v97, 0x140, v93
	v_add_nc_u32_e32 v98, 0x100, v93
	v_fma_f64 v[46:47], v[99:100], s[16:17], v[111:112]
	v_fma_f64 v[8:9], v[99:100], s[16:17], v[8:9]
	;; [unrolled: 1-line block ×12, first 2 shown]
	v_add3_u32 v103, 0, v10, v11
	v_add3_u32 v102, 0, v3, v12
	v_add_nc_u32_e32 v99, 0xc0, v93
	v_add_nc_u32_e32 v100, 0x80, v93
	v_add3_u32 v101, 0, v2, v13
	ds_store_2addr_b64 v103, v[38:39], v[46:47] offset1:24
	ds_store_2addr_b64 v103, v[36:37], v[14:15] offset0:48 offset1:72
	ds_store_b64 v103, v[8:9] offset:768
	ds_store_2addr_b64 v102, v[40:41], v[34:35] offset1:24
	ds_store_2addr_b64 v102, v[26:27], v[28:29] offset0:48 offset1:72
	ds_store_b64 v102, v[24:25] offset:768
	;; [unrolled: 3-line block ×3, first 2 shown]
	global_wb scope:SCOPE_SE
	s_wait_dscnt 0x0
	s_barrier_signal -1
	s_barrier_wait -1
	global_inv scope:SCOPE_SE
	ds_load_2addr_b64 v[24:27], v93 offset1:120
	ds_load_2addr_b64 v[44:47], v93 offset0:176 offset1:240
	ds_load_2addr_stride64_b64 v[36:39], v97 offset0:4 offset1:5
	ds_load_2addr_stride64_b64 v[28:31], v98 offset0:6 offset1:7
	;; [unrolled: 1-line block ×4, first 2 shown]
	ds_load_b64 v[126:127], v95
	ds_load_b64 v[128:129], v93 offset:6208
                                        ; implicit-def: $vgpr14_vgpr15
                                        ; implicit-def: $vgpr10_vgpr11
	s_and_saveexec_b32 s1, s0
	s_cbranch_execz .LBB0_37
; %bb.36:
	v_add_nc_u32_e32 v0, 0x400, v96
	v_add_nc_u32_e32 v8, 0xc00, v96
	;; [unrolled: 1-line block ×3, first 2 shown]
	ds_load_b64 v[122:123], v94
	ds_load_2addr_b64 v[0:3], v0 offset0:104 offset1:224
	ds_load_2addr_b64 v[8:11], v8 offset0:88 offset1:208
	;; [unrolled: 1-line block ×3, first 2 shown]
.LBB0_37:
	s_wait_alu 0xfffe
	s_or_b32 exec_lo, exec_lo, s1
	v_add_f64_e32 v[104:105], v[56:57], v[48:49]
	v_add_f64_e32 v[106:107], v[64:65], v[18:19]
	;; [unrolled: 1-line block ×7, first 2 shown]
	v_add_f64_e64 v[68:69], v[68:69], -v[90:91]
	v_add_f64_e64 v[74:75], v[74:75], -v[84:85]
	v_add_f64_e32 v[84:85], v[52:53], v[66:67]
	v_add_f64_e32 v[90:91], v[16:17], v[62:63]
	v_add_f64_e64 v[76:77], v[76:77], -v[86:87]
	v_add_f64_e64 v[70:71], v[70:71], -v[78:79]
	;; [unrolled: 1-line block ×9, first 2 shown]
	global_wb scope:SCOPE_SE
	s_wait_dscnt 0x0
	s_barrier_signal -1
	s_barrier_wait -1
	global_inv scope:SCOPE_SE
	v_fma_f64 v[104:105], v[104:105], -0.5, v[6:7]
	v_fma_f64 v[6:7], v[106:107], -0.5, v[6:7]
	v_fma_f64 v[78:79], v[108:109], -0.5, v[52:53]
	v_fma_f64 v[52:53], v[110:111], -0.5, v[52:53]
	v_fma_f64 v[82:83], v[112:113], -0.5, v[16:17]
	v_fma_f64 v[16:17], v[114:115], -0.5, v[16:17]
	v_add_f64_e64 v[108:109], v[66:67], -v[58:59]
	v_add_f64_e64 v[66:67], v[58:59], -v[66:67]
	v_add_f64_e32 v[56:57], v[116:117], v[56:57]
	v_add_f64_e32 v[58:59], v[84:85], v[58:59]
	v_add_f64_e64 v[106:107], v[48:49], -v[18:19]
	v_add_f64_e64 v[114:115], v[62:63], -v[60:61]
	;; [unrolled: 1-line block ×3, first 2 shown]
	v_add_f64_e32 v[60:61], v[90:91], v[60:61]
	v_add_f64_e64 v[110:111], v[20:21], -v[50:51]
	v_add_f64_e64 v[112:113], v[50:51], -v[20:21]
	v_add_f64_e32 v[86:87], v[86:87], v[88:89]
	v_fma_f64 v[84:85], v[68:69], s[6:7], v[104:105]
	v_fma_f64 v[90:91], v[68:69], s[2:3], v[104:105]
	;; [unrolled: 1-line block ×12, first 2 shown]
	v_add_f64_e32 v[48:49], v[56:57], v[48:49]
	v_add_f64_e32 v[64:65], v[64:65], v[106:107]
	;; [unrolled: 1-line block ×8, first 2 shown]
	v_fma_f64 v[56:57], v[74:75], s[14:15], v[84:85]
	v_fma_f64 v[58:59], v[74:75], s[12:13], v[90:91]
	;; [unrolled: 1-line block ×12, first 2 shown]
	v_add_f64_e32 v[18:19], v[48:49], v[18:19]
	v_add_f64_e32 v[22:23], v[54:55], v[22:23]
	;; [unrolled: 1-line block ×3, first 2 shown]
	v_fma_f64 v[48:49], v[86:87], s[16:17], v[56:57]
	v_fma_f64 v[50:51], v[86:87], s[16:17], v[58:59]
	;; [unrolled: 1-line block ×12, first 2 shown]
	ds_store_2addr_b64 v103, v[18:19], v[48:49] offset1:24
	ds_store_2addr_b64 v103, v[54:55], v[6:7] offset0:48 offset1:72
	ds_store_b64 v103, v[50:51] offset:768
	ds_store_2addr_b64 v102, v[20:21], v[56:57] offset1:24
	ds_store_2addr_b64 v102, v[60:61], v[52:53] offset0:48 offset1:72
	ds_store_b64 v102, v[58:59] offset:768
	ds_store_2addr_b64 v101, v[22:23], v[64:65] offset1:24
	ds_store_2addr_b64 v101, v[66:67], v[16:17] offset0:48 offset1:72
	ds_store_b64 v101, v[124:125] offset:768
	global_wb scope:SCOPE_SE
	s_wait_dscnt 0x0
	s_barrier_signal -1
	s_barrier_wait -1
	global_inv scope:SCOPE_SE
	ds_load_2addr_b64 v[48:51], v93 offset1:120
	ds_load_2addr_b64 v[68:71], v93 offset0:176 offset1:240
	ds_load_2addr_stride64_b64 v[60:63], v97 offset0:4 offset1:5
	ds_load_2addr_stride64_b64 v[52:55], v98 offset0:6 offset1:7
	;; [unrolled: 1-line block ×4, first 2 shown]
	ds_load_b64 v[130:131], v95
	ds_load_b64 v[134:135], v93 offset:6208
                                        ; implicit-def: $vgpr22_vgpr23
                                        ; implicit-def: $vgpr18_vgpr19
	s_and_saveexec_b32 s1, s0
	s_cbranch_execz .LBB0_39
; %bb.38:
	v_add_nc_u32_e32 v4, 0x400, v96
	v_add_nc_u32_e32 v16, 0xc00, v96
	;; [unrolled: 1-line block ×3, first 2 shown]
	ds_load_b64 v[124:125], v94
	ds_load_2addr_b64 v[4:7], v4 offset0:104 offset1:224
	ds_load_2addr_b64 v[16:19], v16 offset0:88 offset1:208
	;; [unrolled: 1-line block ×3, first 2 shown]
.LBB0_39:
	s_wait_alu 0xfffe
	s_or_b32 exec_lo, exec_lo, s1
	s_and_saveexec_b32 s1, vcc_lo
	s_cbranch_execz .LBB0_42
; %bb.40:
	v_mul_u32_u24_e32 v72, 6, v138
	v_mul_i32_i24_e32 v132, 6, v92
	v_mad_co_u64_u32 v[136:137], null, s8, v138, 0
	v_add_nc_u32_e32 v169, 0x78, v138
	s_delay_alu instid0(VALU_DEP_4)
	v_dual_mov_b32 v133, 0 :: v_dual_lshlrev_b32 v74, 4, v72
	v_add_nc_u32_e32 v170, 0xf0, v138
	v_add_nc_u32_e32 v172, 0x1e0, v138
	v_mul_hi_u32 v175, 0x88888889, v140
	s_clause 0x1
	global_load_b128 v[80:83], v74, s[4:5] offset:1904
	global_load_b128 v[112:115], v74, s[4:5] offset:1968
	v_lshlrev_b64_e32 v[72:73], 4, v[132:133]
	global_load_b128 v[108:111], v74, s[4:5] offset:1888
	v_mad_co_u64_u32 v[153:154], null, s8, v170, 0
	v_mad_co_u64_u32 v[157:158], null, s8, v172, 0
	v_add_co_u32 v76, vcc_lo, s4, v72
	s_wait_alu 0xfffd
	v_add_co_ci_u32_e32 v77, vcc_lo, s5, v73, vcc_lo
	v_mov_b32_e32 v132, v137
	s_clause 0x8
	global_load_b128 v[116:119], v74, s[4:5] offset:1952
	global_load_b128 v[104:107], v[76:77], off offset:1888
	global_load_b128 v[92:95], v[76:77], off offset:1952
	;; [unrolled: 1-line block ×4, first 2 shown]
	global_load_b128 v[88:91], v74, s[4:5] offset:1920
	global_load_b128 v[84:87], v74, s[4:5] offset:1936
	global_load_b128 v[72:75], v[76:77], off offset:1936
	global_load_b128 v[76:79], v[76:77], off offset:1920
	v_mad_co_u64_u32 v[151:152], null, s8, v169, 0
	v_add_nc_u32_e32 v171, 0x168, v138
	v_add_nc_u32_e32 v174, 0x2d0, v138
	s_mov_b32 s6, 0xe976ee23
	s_mov_b32 s14, 0x429ad128
	;; [unrolled: 1-line block ×4, first 2 shown]
	v_mad_co_u64_u32 v[161:162], null, s8, v174, 0
	s_mov_b32 s15, 0x3febfeb5
	s_mov_b32 s24, 0x37e14327
	;; [unrolled: 1-line block ×4, first 2 shown]
	v_add_co_u32 v120, vcc_lo, s10, v120
	s_mov_b32 s12, 0xb247c609
	s_wait_alu 0xfffd
	v_add_co_ci_u32_e32 v121, vcc_lo, s11, v121, vcc_lo
	s_mov_b32 s10, 0xaaaaaaaa
	s_mov_b32 s13, 0x3fd5d0dc
	s_mov_b32 s11, 0xbff2aaaa
	s_mov_b32 s17, 0xbfd5d0dc
	s_mov_b32 s18, 0x5476071b
	s_wait_alu 0xfffe
	s_mov_b32 s16, s12
	s_mov_b32 s19, 0xbfe77f67
	;; [unrolled: 1-line block ×6, first 2 shown]
	s_wait_loadcnt_dscnt 0xb06
	v_mul_f64_e32 v[141:142], v[70:71], v[82:83]
	v_mul_f64_e32 v[82:83], v[46:47], v[82:83]
	s_wait_loadcnt_dscnt 0xa02
	v_mul_f64_e32 v[143:144], v[66:67], v[114:115]
	v_mul_f64_e32 v[114:115], v[42:43], v[114:115]
	s_wait_loadcnt 0x9
	v_mul_f64_e32 v[145:146], v[50:51], v[110:111]
	v_mul_f64_e32 v[110:111], v[26:27], v[110:111]
	s_wait_loadcnt 0x8
	v_mul_f64_e32 v[147:148], v[58:59], v[118:119]
	s_wait_loadcnt 0x7
	v_mul_f64_e32 v[149:150], v[68:69], v[106:107]
	v_mul_f64_e32 v[106:107], v[44:45], v[106:107]
	s_wait_loadcnt 0x6
	v_mul_f64_e32 v[163:164], v[64:65], v[94:95]
	s_wait_loadcnt 0x5
	v_mul_f64_e32 v[165:166], v[60:61], v[98:99]
	v_mul_f64_e32 v[118:119], v[34:35], v[118:119]
	;; [unrolled: 1-line block ×3, first 2 shown]
	s_wait_loadcnt 0x4
	v_mul_f64_e32 v[167:168], v[128:129], v[102:103]
	v_mul_f64_e32 v[98:99], v[36:37], v[98:99]
	v_fma_f64 v[46:47], v[46:47], v[80:81], -v[141:142]
	v_fma_f64 v[70:71], v[70:71], v[80:81], v[82:83]
	s_wait_dscnt 0x0
	v_mul_f64_e32 v[80:81], v[134:135], v[102:103]
	v_fma_f64 v[42:43], v[42:43], v[112:113], -v[143:144]
	v_fma_f64 v[66:67], v[66:67], v[112:113], v[114:115]
	s_wait_loadcnt 0x3
	v_mul_f64_e32 v[112:113], v[62:63], v[90:91]
	v_fma_f64 v[26:27], v[26:27], v[108:109], -v[145:146]
	v_fma_f64 v[44:45], v[44:45], v[104:105], -v[149:150]
	v_fma_f64 v[68:69], v[68:69], v[104:105], v[106:107]
	s_wait_loadcnt 0x1
	v_mul_f64_e32 v[104:105], v[56:57], v[74:75]
	s_wait_loadcnt 0x0
	v_mul_f64_e32 v[106:107], v[52:53], v[78:79]
	v_fma_f64 v[40:41], v[40:41], v[92:93], -v[163:164]
	v_fma_f64 v[36:37], v[36:37], v[96:97], -v[165:166]
	v_fma_f64 v[50:51], v[50:51], v[108:109], v[110:111]
	v_mov_b32_e32 v111, v162
	v_mul_f64_e32 v[90:91], v[38:39], v[90:91]
	v_mul_f64_e32 v[108:109], v[54:55], v[86:87]
	v_fma_f64 v[34:35], v[34:35], v[116:117], -v[147:148]
	v_fma_f64 v[58:59], v[58:59], v[116:117], v[118:119]
	v_mul_f64_e32 v[86:87], v[30:31], v[86:87]
	v_mul_f64_e32 v[78:79], v[28:29], v[78:79]
	;; [unrolled: 1-line block ×3, first 2 shown]
	v_fma_f64 v[64:65], v[64:65], v[92:93], v[94:95]
	v_fma_f64 v[94:95], v[134:135], v[100:101], v[167:168]
	v_fma_f64 v[60:61], v[60:61], v[96:97], v[98:99]
	v_lshrrev_b32_e32 v103, 6, v175
	v_dual_mov_b32 v82, v152 :: v_dual_mov_b32 v83, v154
	v_mad_co_u64_u32 v[114:115], null, s9, v138, v[132:133]
	s_delay_alu instid0(VALU_DEP_3) | instskip(SKIP_1) | instid1(VALU_DEP_4)
	v_mad_u32_u24 v140, 0x2d0, v103, v140
	v_mov_b32_e32 v103, v158
	v_mad_co_u64_u32 v[115:116], null, s9, v169, v[82:83]
	v_mad_co_u64_u32 v[82:83], null, s9, v170, v[83:84]
	;; [unrolled: 1-line block ×3, first 2 shown]
	v_add_nc_u32_e32 v173, 0x258, v138
	v_add_nc_u32_e32 v147, 0xf0, v140
	v_fma_f64 v[80:81], v[128:129], v[100:101], -v[80:81]
	v_dual_mov_b32 v152, v115 :: v_dual_add_nc_u32 v163, 0x168, v140
	v_fma_f64 v[38:39], v[38:39], v[88:89], -v[112:113]
	v_mov_b32_e32 v102, v156
	v_mad_co_u64_u32 v[159:160], null, s8, v173, 0
	v_mad_co_u64_u32 v[92:93], null, s9, v172, v[103:104]
	v_fma_f64 v[32:33], v[32:33], v[72:73], -v[104:105]
	v_fma_f64 v[28:29], v[28:29], v[76:77], -v[106:107]
	v_add_f64_e32 v[106:107], v[36:37], v[40:41]
	v_add_f64_e64 v[36:37], v[36:37], -v[40:41]
	v_fma_f64 v[62:63], v[62:63], v[88:89], v[90:91]
	v_fma_f64 v[30:31], v[30:31], v[84:85], -v[108:109]
	v_add_f64_e32 v[89:90], v[46:47], v[34:35]
	v_add_f64_e64 v[34:35], v[46:47], -v[34:35]
	v_fma_f64 v[54:55], v[54:55], v[84:85], v[86:87]
	v_add_f64_e32 v[83:84], v[50:51], v[66:67]
	v_add_f64_e32 v[85:86], v[70:71], v[58:59]
	;; [unrolled: 1-line block ×3, first 2 shown]
	v_fma_f64 v[52:53], v[52:53], v[76:77], v[78:79]
	v_fma_f64 v[56:57], v[56:57], v[72:73], v[74:75]
	v_add_f64_e32 v[76:77], v[68:69], v[94:95]
	v_add_f64_e32 v[78:79], v[60:61], v[64:65]
	v_add_f64_e64 v[42:43], v[26:27], -v[42:43]
	v_add_f64_e64 v[58:59], v[70:71], -v[58:59]
	;; [unrolled: 1-line block ×3, first 2 shown]
	v_mov_b32_e32 v110, v160
	v_mad_co_u64_u32 v[72:73], null, s8, v147, 0
	v_mad_co_u64_u32 v[74:75], null, s8, v163, 0
	s_delay_alu instid0(VALU_DEP_3)
	v_mad_co_u64_u32 v[96:97], null, s9, v173, v[110:111]
	v_mad_co_u64_u32 v[97:98], null, s9, v174, v[111:112]
	;; [unrolled: 1-line block ×3, first 2 shown]
	v_add_f64_e32 v[104:105], v[44:45], v[80:81]
	v_add_f64_e64 v[40:41], v[44:45], -v[80:81]
	v_dual_mov_b32 v137, v114 :: v_dual_add_nc_u32 v132, 0x78, v140
	v_mad_co_u64_u32 v[147:148], null, s9, v147, v[73:74]
	v_dual_mov_b32 v154, v82 :: v_dual_add_nc_u32 v165, 0x258, v140
	s_delay_alu instid0(VALU_DEP_3)
	v_mad_co_u64_u32 v[100:101], null, s8, v132, 0
	v_add_f64_e64 v[44:45], v[32:33], -v[28:29]
	v_add_f64_e32 v[28:29], v[32:33], v[28:29]
	v_add_f64_e64 v[32:33], v[60:61], -v[64:65]
	v_add_f64_e64 v[60:61], v[68:69], -v[94:95]
	;; [unrolled: 1-line block ×3, first 2 shown]
	v_add_f64_e32 v[30:31], v[30:31], v[38:39]
	v_add_f64_e64 v[46:47], v[54:55], -v[62:63]
	v_add_f64_e32 v[54:55], v[54:55], v[62:63]
	v_add_f64_e32 v[38:39], v[83:84], v[85:86]
	;; [unrolled: 1-line block ×3, first 2 shown]
	v_dual_mov_b32 v82, v99 :: v_dual_mov_b32 v73, v147
	v_add_f64_e32 v[70:71], v[56:57], v[52:53]
	v_add_f64_e32 v[64:65], v[76:77], v[78:79]
	v_add_f64_e64 v[52:53], v[56:57], -v[52:53]
	v_mad_co_u64_u32 v[116:117], null, s9, v171, v[102:103]
	v_mad_co_u64_u32 v[66:67], null, s9, v140, v[82:83]
	v_dual_mov_b32 v67, v101 :: v_dual_add_nc_u32 v164, 0x1e0, v140
	v_mad_co_u64_u32 v[108:109], null, s8, v165, 0
	s_delay_alu instid0(VALU_DEP_4)
	v_mov_b32_e32 v156, v116
	v_add_nc_u32_e32 v166, 0x2d0, v140
	v_lshlrev_b64_e32 v[112:113], 4, v[136:137]
	v_add_f64_e64 v[128:129], v[34:35], -v[42:43]
	v_add_f64_e64 v[136:137], v[58:59], -v[50:51]
	v_add_f64_e32 v[68:69], v[104:105], v[106:107]
	v_mov_b32_e32 v57, v109
	v_mov_b32_e32 v99, v66
	v_lshlrev_b64_e32 v[93:94], 4, v[155:156]
	v_lshlrev_b64_e32 v[81:82], 4, v[151:152]
	v_add_f64_e64 v[148:149], v[36:37], -v[40:41]
	v_mad_co_u64_u32 v[102:103], null, s8, v164, 0
	v_mad_co_u64_u32 v[110:111], null, s8, v166, 0
	v_mov_b32_e32 v162, v97
	v_add_co_u32 v112, vcc_lo, v120, v112
	s_wait_alu 0xfffd
	v_add_co_ci_u32_e32 v113, vcc_lo, v121, v113, vcc_lo
	v_add_f64_e64 v[118:119], v[26:27], -v[34:35]
	v_add_f64_e64 v[134:135], v[46:47], -v[58:59]
	v_add_f64_e64 v[143:144], v[30:31], -v[89:90]
	v_add_f64_e32 v[38:39], v[54:55], v[38:39]
	v_add_f64_e32 v[62:63], v[30:31], v[62:63]
	v_add_f64_e64 v[145:146], v[87:88], -v[30:31]
	v_add_f64_e64 v[30:31], v[44:45], -v[36:37]
	;; [unrolled: 1-line block ×3, first 2 shown]
	v_add_f64_e32 v[64:65], v[70:71], v[64:65]
	v_mov_b32_e32 v56, v103
	v_lshlrev_b64_e32 v[116:117], 4, v[161:162]
	v_add_f64_e32 v[34:35], v[26:27], v[34:35]
	v_add_f64_e32 v[36:37], v[44:45], v[36:37]
	v_add_f64_e64 v[87:88], v[89:90], -v[87:88]
	v_mad_co_u64_u32 v[161:162], null, s9, v164, v[56:57]
	v_mad_co_u64_u32 v[56:57], null, s9, v165, v[57:58]
	v_mov_b32_e32 v80, v111
	v_add_f64_e32 v[57:58], v[46:47], v[58:59]
	v_add_f64_e64 v[46:47], v[50:51], -v[46:47]
	v_add_f64_e64 v[44:45], v[40:41], -v[44:45]
	v_mad_co_u64_u32 v[140:141], null, s9, v132, v[67:68]
	v_mov_b32_e32 v109, v56
	v_add_f64_e64 v[141:142], v[54:55], -v[85:86]
	v_add_f64_e64 v[54:55], v[83:84], -v[54:55]
	v_mov_b32_e32 v158, v92
	v_lshlrev_b64_e32 v[91:92], 4, v[153:154]
	v_mad_co_u64_u32 v[154:155], null, s9, v163, v[75:76]
	v_dual_mov_b32 v101, v140 :: v_dual_mov_b32 v160, v96
	s_delay_alu instid0(VALU_DEP_4)
	v_lshlrev_b64_e32 v[95:96], 4, v[157:158]
	v_add_f64_e64 v[152:153], v[70:71], -v[78:79]
	v_add_f64_e64 v[155:156], v[28:29], -v[106:107]
	;; [unrolled: 1-line block ×4, first 2 shown]
	v_add_f64_e32 v[67:68], v[28:29], v[68:69]
	v_lshlrev_b64_e32 v[114:115], 4, v[159:160]
	v_add_f64_e64 v[159:160], v[104:105], -v[28:29]
	v_mad_co_u64_u32 v[162:163], null, s9, v166, v[80:81]
	v_add_f64_e64 v[163:164], v[42:43], -v[26:27]
	v_add_f64_e64 v[83:84], v[85:86], -v[83:84]
	v_add_f64_e32 v[32:33], v[52:53], v[32:33]
	v_mul_f64_e32 v[85:86], s[6:7], v[118:119]
	v_mul_f64_e32 v[118:119], s[14:15], v[128:129]
	;; [unrolled: 1-line block ×4, first 2 shown]
	v_add_f64_e32 v[26:27], v[48:49], v[38:39]
	v_add_f64_e32 v[24:25], v[24:25], v[62:63]
	v_add_f64_e64 v[75:76], v[78:79], -v[76:77]
	v_mul_f64_e32 v[77:78], s[14:15], v[148:149]
	v_mul_f64_e32 v[79:80], s[6:7], v[30:31]
	v_add_f64_e64 v[103:104], v[106:107], -v[104:105]
	v_add_f64_e64 v[52:53], v[60:61], -v[52:53]
	v_add_f64_e32 v[30:31], v[130:131], v[64:65]
	v_add_f64_e32 v[34:35], v[42:43], v[34:35]
	;; [unrolled: 1-line block ×4, first 2 shown]
	v_add_co_u32 v81, vcc_lo, v120, v81
	v_mul_f64_e32 v[89:90], s[22:23], v[141:142]
	v_mul_f64_e32 v[141:142], s[22:23], v[143:144]
	;; [unrolled: 1-line block ×4, first 2 shown]
	s_wait_alu 0xfffd
	v_add_co_ci_u32_e32 v82, vcc_lo, v121, v82, vcc_lo
	v_add_co_u32 v91, vcc_lo, v120, v91
	s_wait_alu 0xfffd
	v_add_co_ci_u32_e32 v92, vcc_lo, v121, v92, vcc_lo
	v_mul_f64_e32 v[105:106], s[22:23], v[152:153]
	v_mul_f64_e32 v[152:153], s[24:25], v[150:151]
	;; [unrolled: 1-line block ×5, first 2 shown]
	v_add_f64_e32 v[28:29], v[126:127], v[67:68]
	v_mul_f64_e32 v[130:131], s[24:25], v[159:160]
	v_add_co_u32 v93, vcc_lo, v120, v93
	s_wait_alu 0xfffd
	v_add_co_ci_u32_e32 v94, vcc_lo, v121, v94, vcc_lo
	v_add_f64_e32 v[32:33], v[60:61], v[32:33]
	v_fma_f64 v[40:41], v[163:164], s[12:13], v[85:86]
	s_wait_alu 0xfffe
	v_fma_f64 v[50:51], v[163:164], s[16:17], -v[118:119]
	v_fma_f64 v[57:58], v[128:129], s[14:15], -v[85:86]
	v_fma_f64 v[59:60], v[46:47], s[12:13], v[134:135]
	v_fma_f64 v[46:47], v[46:47], s[16:17], -v[165:166]
	v_fma_f64 v[85:86], v[136:137], s[14:15], -v[134:135]
	v_fma_f64 v[38:39], v[38:39], s[10:11], v[26:27]
	v_fma_f64 v[61:62], v[62:63], s[10:11], v[24:25]
	v_fma_f64 v[77:78], v[44:45], s[16:17], -v[77:78]
	v_fma_f64 v[44:45], v[44:45], s[12:13], v[79:80]
	v_fma_f64 v[79:80], v[148:149], s[14:15], -v[79:80]
	v_fma_f64 v[63:64], v[64:65], s[10:11], v[30:31]
	v_add_co_u32 v95, vcc_lo, v120, v95
	s_wait_alu 0xfffd
	v_add_co_ci_u32_e32 v96, vcc_lo, v121, v96, vcc_lo
	v_fma_f64 v[54:55], v[54:55], s[24:25], v[89:90]
	v_fma_f64 v[118:119], v[145:146], s[24:25], v[141:142]
	v_fma_f64 v[48:49], v[83:84], s[18:19], -v[48:49]
	v_fma_f64 v[126:127], v[87:88], s[18:19], -v[143:144]
	;; [unrolled: 1-line block ×4, first 2 shown]
	v_add_co_u32 v114, vcc_lo, v120, v114
	s_wait_alu 0xfffd
	v_add_co_ci_u32_e32 v115, vcc_lo, v121, v115, vcc_lo
	v_fma_f64 v[89:90], v[150:151], s[24:25], v[105:106]
	v_fma_f64 v[128:129], v[75:76], s[18:19], -v[152:153]
	v_fma_f64 v[75:76], v[75:76], s[20:21], -v[105:106]
	v_fma_f64 v[105:106], v[159:160], s[24:25], v[155:156]
	v_fma_f64 v[134:135], v[52:53], s[16:17], -v[167:168]
	v_fma_f64 v[52:53], v[52:53], s[12:13], v[69:70]
	v_fma_f64 v[67:68], v[67:68], s[10:11], v[28:29]
	v_fma_f64 v[130:131], v[103:104], s[18:19], -v[130:131]
	v_fma_f64 v[69:70], v[157:158], s[14:15], -v[69:70]
	;; [unrolled: 1-line block ×3, first 2 shown]
	v_mov_b32_e32 v111, v162
	v_fma_f64 v[136:137], v[34:35], s[2:3], v[40:41]
	v_fma_f64 v[50:51], v[34:35], s[2:3], v[50:51]
	;; [unrolled: 1-line block ×8, first 2 shown]
	v_add_f64_e32 v[54:55], v[54:55], v[38:39]
	v_add_f64_e32 v[85:86], v[118:119], v[61:62]
	;; [unrolled: 1-line block ×6, first 2 shown]
	v_add_co_u32 v87, vcc_lo, v120, v116
	s_wait_alu 0xfffd
	v_add_co_ci_u32_e32 v88, vcc_lo, v121, v117, vcc_lo
	v_fma_f64 v[116:117], v[36:37], s[2:3], v[44:45]
	v_add_f64_e32 v[89:90], v[89:90], v[63:64]
	v_add_f64_e32 v[126:127], v[128:129], v[63:64]
	;; [unrolled: 1-line block ×3, first 2 shown]
	v_mov_b32_e32 v75, v154
	v_fma_f64 v[128:129], v[32:33], s[2:3], v[52:53]
	v_add_f64_e32 v[105:106], v[105:106], v[67:68]
	v_fma_f64 v[134:135], v[32:33], s[2:3], v[134:135]
	v_add_f64_e32 v[130:131], v[130:131], v[67:68]
	;; [unrolled: 2-line block ×3, first 2 shown]
	v_lshlrev_b64_e32 v[32:33], 4, v[98:99]
	v_mov_b32_e32 v103, v161
	v_lshlrev_b64_e32 v[97:98], 4, v[100:101]
	v_lshlrev_b64_e32 v[147:148], 4, v[74:75]
	;; [unrolled: 1-line block ×3, first 2 shown]
	s_delay_alu instid0(VALU_DEP_4)
	v_lshlrev_b64_e32 v[101:102], 4, v[102:103]
	v_lshlrev_b64_e32 v[103:104], 4, v[108:109]
	v_add_co_u32 v109, vcc_lo, v120, v32
	v_lshlrev_b64_e32 v[107:108], 4, v[110:111]
	s_wait_alu 0xfffd
	v_add_co_ci_u32_e32 v110, vcc_lo, v121, v33, vcc_lo
	v_add_f64_e32 v[34:35], v[136:137], v[54:55]
	v_add_f64_e64 v[54:55], v[54:55], -v[136:137]
	v_add_f64_e32 v[52:53], v[59:60], v[85:86]
	v_add_f64_e32 v[38:39], v[50:51], v[48:49]
	v_add_f64_e64 v[50:51], v[48:49], -v[50:51]
	v_add_f64_e32 v[48:49], v[141:142], v[118:119]
	v_add_f64_e64 v[42:43], v[83:84], -v[46:47]
	;; [unrolled: 2-line block ×4, first 2 shown]
	v_add_f64_e64 v[32:33], v[85:86], -v[59:60]
	v_add_f64_e32 v[62:63], v[77:78], v[126:127]
	v_add_f64_e64 v[66:67], v[64:65], -v[79:80]
	v_add_f64_e32 v[70:71], v[79:80], v[64:65]
	v_add_f64_e64 v[74:75], v[126:127], -v[77:78]
	v_add_f64_e64 v[78:79], v[89:90], -v[116:117]
	v_add_f64_e32 v[76:77], v[128:129], v[105:106]
	v_add_f64_e32 v[72:73], v[134:135], v[130:131]
	v_add_f64_e64 v[60:61], v[130:131], -v[134:135]
	v_add_f64_e64 v[68:69], v[145:146], -v[143:144]
	v_add_f64_e32 v[64:65], v[143:144], v[145:146]
	v_add_f64_e32 v[58:59], v[116:117], v[89:90]
	v_add_f64_e64 v[56:57], v[105:106], -v[128:129]
	v_add_co_u32 v83, vcc_lo, v120, v97
	s_wait_alu 0xfffd
	v_add_co_ci_u32_e32 v84, vcc_lo, v121, v98, vcc_lo
	v_add_co_u32 v85, vcc_lo, v120, v99
	s_wait_alu 0xfffd
	v_add_co_ci_u32_e32 v86, vcc_lo, v121, v100, vcc_lo
	;; [unrolled: 3-line block ×6, first 2 shown]
	s_clause 0xd
	global_store_b128 v[112:113], v[24:27], off
	global_store_b128 v[81:82], v[52:55], off
	;; [unrolled: 1-line block ×14, first 2 shown]
	s_and_b32 exec_lo, exec_lo, s0
	s_cbranch_execz .LBB0_42
; %bb.41:
	v_add_nc_u32_e32 v24, -8, v138
	v_or_b32_e32 v60, 0x70, v138
	v_or_b32_e32 v61, 0xe8, v138
	;; [unrolled: 1-line block ×4, first 2 shown]
	v_cndmask_b32_e64 v24, v24, v139, s0
	v_or_b32_e32 v64, 0x250, v138
	v_or_b32_e32 v65, 0x2c8, v138
	;; [unrolled: 1-line block ×3, first 2 shown]
	s_delay_alu instid0(VALU_DEP_4) | instskip(NEXT) | instid1(VALU_DEP_1)
	v_mul_i32_i24_e32 v132, 6, v24
	v_lshlrev_b64_e32 v[24:25], 4, v[132:133]
	s_delay_alu instid0(VALU_DEP_1) | instskip(SKIP_1) | instid1(VALU_DEP_2)
	v_add_co_u32 v44, vcc_lo, s4, v24
	s_wait_alu 0xfffd
	v_add_co_ci_u32_e32 v45, vcc_lo, s5, v25, vcc_lo
	s_clause 0x5
	global_load_b128 v[24:27], v[44:45], off offset:1888
	global_load_b128 v[28:31], v[44:45], off offset:1904
	;; [unrolled: 1-line block ×6, first 2 shown]
	s_wait_loadcnt 0x5
	v_mul_f64_e32 v[48:49], v[4:5], v[26:27]
	v_mul_f64_e32 v[26:27], v[0:1], v[26:27]
	s_wait_loadcnt 0x4
	v_mul_f64_e32 v[50:51], v[6:7], v[30:31]
	v_mul_f64_e32 v[30:31], v[2:3], v[30:31]
	;; [unrolled: 3-line block ×6, first 2 shown]
	v_fma_f64 v[0:1], v[0:1], v[24:25], -v[48:49]
	v_fma_f64 v[4:5], v[4:5], v[24:25], v[26:27]
	v_fma_f64 v[2:3], v[2:3], v[28:29], -v[50:51]
	v_fma_f64 v[6:7], v[6:7], v[28:29], v[30:31]
	;; [unrolled: 2-line block ×6, first 2 shown]
	v_mad_co_u64_u32 v[48:49], null, s8, v66, 0
	v_add_f64_e32 v[24:25], v[0:1], v[14:15]
	v_add_f64_e32 v[26:27], v[4:5], v[22:23]
	;; [unrolled: 1-line block ×4, first 2 shown]
	v_add_f64_e64 v[2:3], v[2:3], -v[12:13]
	v_add_f64_e64 v[6:7], v[6:7], -v[20:21]
	v_add_f64_e32 v[12:13], v[8:9], v[10:11]
	v_add_f64_e32 v[20:21], v[16:17], v[18:19]
	v_add_f64_e64 v[8:9], v[10:11], -v[8:9]
	v_add_f64_e64 v[10:11], v[18:19], -v[16:17]
	;; [unrolled: 1-line block ×4, first 2 shown]
	v_add_f64_e32 v[0:1], v[28:29], v[24:25]
	v_add_f64_e32 v[16:17], v[30:31], v[26:27]
	v_add_f64_e64 v[18:19], v[24:25], -v[12:13]
	v_add_f64_e64 v[22:23], v[26:27], -v[20:21]
	;; [unrolled: 1-line block ×6, first 2 shown]
	v_add_f64_e32 v[42:43], v[8:9], v[2:3]
	v_add_f64_e32 v[6:7], v[10:11], v[6:7]
	v_add_f64_e64 v[8:9], v[14:15], -v[8:9]
	v_add_f64_e64 v[10:11], v[4:5], -v[10:11]
	;; [unrolled: 1-line block ×4, first 2 shown]
	v_add_f64_e32 v[40:41], v[12:13], v[0:1]
	v_add_f64_e32 v[16:17], v[20:21], v[16:17]
	v_add_f64_e64 v[12:13], v[12:13], -v[28:29]
	v_add_f64_e64 v[20:21], v[20:21], -v[30:31]
	v_mul_f64_e32 v[18:19], s[24:25], v[18:19]
	v_mul_f64_e32 v[22:23], s[24:25], v[22:23]
	;; [unrolled: 1-line block ×6, first 2 shown]
	v_add_f64_e32 v[14:15], v[42:43], v[14:15]
	v_add_f64_e32 v[4:5], v[6:7], v[4:5]
	;; [unrolled: 1-line block ×4, first 2 shown]
	v_mul_f64_e32 v[28:29], s[22:23], v[12:13]
	v_mul_f64_e32 v[30:31], s[22:23], v[20:21]
	v_fma_f64 v[6:7], v[12:13], s[22:23], v[18:19]
	v_fma_f64 v[12:13], v[20:21], s[22:23], v[22:23]
	v_fma_f64 v[20:21], v[8:9], s[12:13], v[32:33]
	v_fma_f64 v[42:43], v[10:11], s[12:13], v[34:35]
	v_fma_f64 v[32:33], v[36:37], s[14:15], -v[32:33]
	v_fma_f64 v[34:35], v[38:39], s[14:15], -v[34:35]
	;; [unrolled: 1-line block ×6, first 2 shown]
	v_mad_co_u64_u32 v[38:39], null, s8, v62, 0
	v_mad_co_u64_u32 v[44:45], null, s8, v64, 0
	;; [unrolled: 1-line block ×3, first 2 shown]
	v_fma_f64 v[36:37], v[40:41], s[10:11], v[0:1]
	v_fma_f64 v[16:17], v[16:17], s[10:11], v[2:3]
	v_fma_f64 v[24:25], v[24:25], s[20:21], -v[28:29]
	v_fma_f64 v[26:27], v[26:27], s[20:21], -v[30:31]
	v_mad_co_u64_u32 v[28:29], null, s8, v60, 0
	v_fma_f64 v[50:51], v[14:15], s[2:3], v[20:21]
	v_fma_f64 v[42:43], v[4:5], s[2:3], v[42:43]
	;; [unrolled: 1-line block ×6, first 2 shown]
	v_mov_b32_e32 v5, v39
	v_mad_co_u64_u32 v[30:31], null, s8, v61, 0
	v_mad_co_u64_u32 v[40:41], null, s8, v63, 0
	v_mov_b32_e32 v9, v49
	s_delay_alu instid0(VALU_DEP_3) | instskip(NEXT) | instid1(VALU_DEP_4)
	v_mad_co_u64_u32 v[10:11], null, s9, v60, v[29:30]
	v_mov_b32_e32 v4, v31
	s_delay_alu instid0(VALU_DEP_2) | instskip(NEXT) | instid1(VALU_DEP_1)
	v_dual_mov_b32 v8, v47 :: v_dual_mov_b32 v29, v10
	v_lshlrev_b64_e32 v[28:29], 4, v[28:29]
	v_add_f64_e32 v[54:55], v[6:7], v[36:37]
	v_add_f64_e32 v[56:57], v[12:13], v[16:17]
	;; [unrolled: 1-line block ×6, first 2 shown]
	v_dual_mov_b32 v6, v41 :: v_dual_mov_b32 v7, v45
	v_mad_co_u64_u32 v[11:12], null, s9, v61, v[4:5]
	v_add_co_u32 v28, vcc_lo, v120, v28
	s_delay_alu instid0(VALU_DEP_3) | instskip(NEXT) | instid1(VALU_DEP_4)
	v_mad_co_u64_u32 v[4:5], null, s9, v62, v[5:6]
	v_mad_co_u64_u32 v[5:6], null, s9, v63, v[6:7]
	;; [unrolled: 1-line block ×5, first 2 shown]
	v_mov_b32_e32 v39, v4
	v_mov_b32_e32 v41, v5
	;; [unrolled: 1-line block ×5, first 2 shown]
	v_lshlrev_b64_e32 v[36:37], 4, v[38:39]
	v_mov_b32_e32 v49, v8
	s_wait_alu 0xfffd
	v_add_co_ci_u32_e32 v29, vcc_lo, v121, v29, vcc_lo
	v_lshlrev_b64_e32 v[30:31], 4, v[30:31]
	v_lshlrev_b64_e32 v[38:39], 4, v[40:41]
	;; [unrolled: 1-line block ×3, first 2 shown]
	s_delay_alu instid0(VALU_DEP_3)
	v_add_co_u32 v30, vcc_lo, v120, v30
	v_add_f64_e32 v[4:5], v[42:43], v[54:55]
	v_add_f64_e64 v[6:7], v[56:57], -v[50:51]
	v_add_f64_e32 v[8:9], v[52:53], v[58:59]
	v_add_f64_e64 v[10:11], v[22:23], -v[34:35]
	v_add_f64_e64 v[12:13], v[18:19], -v[32:33]
	v_add_f64_e32 v[14:15], v[20:21], v[24:25]
	v_add_f64_e32 v[16:17], v[32:33], v[18:19]
	v_add_f64_e64 v[18:19], v[24:25], -v[20:21]
	v_add_f64_e64 v[20:21], v[58:59], -v[52:53]
	v_add_f64_e32 v[22:23], v[34:35], v[22:23]
	v_add_f64_e64 v[24:25], v[54:55], -v[42:43]
	v_add_f64_e32 v[26:27], v[50:51], v[56:57]
	s_wait_alu 0xfffd
	v_add_co_ci_u32_e32 v31, vcc_lo, v121, v31, vcc_lo
	v_lshlrev_b64_e32 v[32:33], 4, v[44:45]
	v_add_co_u32 v36, vcc_lo, v120, v36
	s_wait_alu 0xfffd
	v_add_co_ci_u32_e32 v37, vcc_lo, v121, v37, vcc_lo
	v_lshlrev_b64_e32 v[34:35], 4, v[46:47]
	v_add_co_u32 v38, vcc_lo, v120, v38
	s_wait_alu 0xfffd
	v_add_co_ci_u32_e32 v39, vcc_lo, v121, v39, vcc_lo
	v_add_co_u32 v32, vcc_lo, v120, v32
	s_wait_alu 0xfffd
	v_add_co_ci_u32_e32 v33, vcc_lo, v121, v33, vcc_lo
	;; [unrolled: 3-line block ×4, first 2 shown]
	s_clause 0x6
	global_store_b128 v[28:29], v[0:3], off
	global_store_b128 v[30:31], v[4:7], off
	;; [unrolled: 1-line block ×7, first 2 shown]
.LBB0_42:
	s_nop 0
	s_sendmsg sendmsg(MSG_DEALLOC_VGPRS)
	s_endpgm
	.section	.rodata,"a",@progbits
	.p2align	6, 0x0
	.amdhsa_kernel fft_rtc_fwd_len840_factors_2_2_2_3_5_7_wgs_56_tpt_56_halfLds_dp_ip_CI_sbrr_dirReg
		.amdhsa_group_segment_fixed_size 0
		.amdhsa_private_segment_fixed_size 0
		.amdhsa_kernarg_size 88
		.amdhsa_user_sgpr_count 2
		.amdhsa_user_sgpr_dispatch_ptr 0
		.amdhsa_user_sgpr_queue_ptr 0
		.amdhsa_user_sgpr_kernarg_segment_ptr 1
		.amdhsa_user_sgpr_dispatch_id 0
		.amdhsa_user_sgpr_private_segment_size 0
		.amdhsa_wavefront_size32 1
		.amdhsa_uses_dynamic_stack 0
		.amdhsa_enable_private_segment 0
		.amdhsa_system_sgpr_workgroup_id_x 1
		.amdhsa_system_sgpr_workgroup_id_y 0
		.amdhsa_system_sgpr_workgroup_id_z 0
		.amdhsa_system_sgpr_workgroup_info 0
		.amdhsa_system_vgpr_workitem_id 0
		.amdhsa_next_free_vgpr 176
		.amdhsa_next_free_sgpr 35
		.amdhsa_reserve_vcc 1
		.amdhsa_float_round_mode_32 0
		.amdhsa_float_round_mode_16_64 0
		.amdhsa_float_denorm_mode_32 3
		.amdhsa_float_denorm_mode_16_64 3
		.amdhsa_fp16_overflow 0
		.amdhsa_workgroup_processor_mode 1
		.amdhsa_memory_ordered 1
		.amdhsa_forward_progress 0
		.amdhsa_round_robin_scheduling 0
		.amdhsa_exception_fp_ieee_invalid_op 0
		.amdhsa_exception_fp_denorm_src 0
		.amdhsa_exception_fp_ieee_div_zero 0
		.amdhsa_exception_fp_ieee_overflow 0
		.amdhsa_exception_fp_ieee_underflow 0
		.amdhsa_exception_fp_ieee_inexact 0
		.amdhsa_exception_int_div_zero 0
	.end_amdhsa_kernel
	.text
.Lfunc_end0:
	.size	fft_rtc_fwd_len840_factors_2_2_2_3_5_7_wgs_56_tpt_56_halfLds_dp_ip_CI_sbrr_dirReg, .Lfunc_end0-fft_rtc_fwd_len840_factors_2_2_2_3_5_7_wgs_56_tpt_56_halfLds_dp_ip_CI_sbrr_dirReg
                                        ; -- End function
	.section	.AMDGPU.csdata,"",@progbits
; Kernel info:
; codeLenInByte = 13764
; NumSgprs: 37
; NumVgprs: 176
; ScratchSize: 0
; MemoryBound: 1
; FloatMode: 240
; IeeeMode: 1
; LDSByteSize: 0 bytes/workgroup (compile time only)
; SGPRBlocks: 4
; VGPRBlocks: 21
; NumSGPRsForWavesPerEU: 37
; NumVGPRsForWavesPerEU: 176
; Occupancy: 8
; WaveLimiterHint : 1
; COMPUTE_PGM_RSRC2:SCRATCH_EN: 0
; COMPUTE_PGM_RSRC2:USER_SGPR: 2
; COMPUTE_PGM_RSRC2:TRAP_HANDLER: 0
; COMPUTE_PGM_RSRC2:TGID_X_EN: 1
; COMPUTE_PGM_RSRC2:TGID_Y_EN: 0
; COMPUTE_PGM_RSRC2:TGID_Z_EN: 0
; COMPUTE_PGM_RSRC2:TIDIG_COMP_CNT: 0
	.text
	.p2alignl 7, 3214868480
	.fill 96, 4, 3214868480
	.type	__hip_cuid_93420371109b68d4,@object ; @__hip_cuid_93420371109b68d4
	.section	.bss,"aw",@nobits
	.globl	__hip_cuid_93420371109b68d4
__hip_cuid_93420371109b68d4:
	.byte	0                               ; 0x0
	.size	__hip_cuid_93420371109b68d4, 1

	.ident	"AMD clang version 19.0.0git (https://github.com/RadeonOpenCompute/llvm-project roc-6.4.0 25133 c7fe45cf4b819c5991fe208aaa96edf142730f1d)"
	.section	".note.GNU-stack","",@progbits
	.addrsig
	.addrsig_sym __hip_cuid_93420371109b68d4
	.amdgpu_metadata
---
amdhsa.kernels:
  - .args:
      - .actual_access:  read_only
        .address_space:  global
        .offset:         0
        .size:           8
        .value_kind:     global_buffer
      - .offset:         8
        .size:           8
        .value_kind:     by_value
      - .actual_access:  read_only
        .address_space:  global
        .offset:         16
        .size:           8
        .value_kind:     global_buffer
      - .actual_access:  read_only
        .address_space:  global
        .offset:         24
        .size:           8
        .value_kind:     global_buffer
      - .offset:         32
        .size:           8
        .value_kind:     by_value
      - .actual_access:  read_only
        .address_space:  global
        .offset:         40
        .size:           8
        .value_kind:     global_buffer
      - .actual_access:  read_only
        .address_space:  global
        .offset:         48
        .size:           8
        .value_kind:     global_buffer
      - .offset:         56
        .size:           4
        .value_kind:     by_value
      - .actual_access:  read_only
        .address_space:  global
        .offset:         64
        .size:           8
        .value_kind:     global_buffer
      - .actual_access:  read_only
        .address_space:  global
        .offset:         72
        .size:           8
        .value_kind:     global_buffer
      - .address_space:  global
        .offset:         80
        .size:           8
        .value_kind:     global_buffer
    .group_segment_fixed_size: 0
    .kernarg_segment_align: 8
    .kernarg_segment_size: 88
    .language:       OpenCL C
    .language_version:
      - 2
      - 0
    .max_flat_workgroup_size: 56
    .name:           fft_rtc_fwd_len840_factors_2_2_2_3_5_7_wgs_56_tpt_56_halfLds_dp_ip_CI_sbrr_dirReg
    .private_segment_fixed_size: 0
    .sgpr_count:     37
    .sgpr_spill_count: 0
    .symbol:         fft_rtc_fwd_len840_factors_2_2_2_3_5_7_wgs_56_tpt_56_halfLds_dp_ip_CI_sbrr_dirReg.kd
    .uniform_work_group_size: 1
    .uses_dynamic_stack: false
    .vgpr_count:     176
    .vgpr_spill_count: 0
    .wavefront_size: 32
    .workgroup_processor_mode: 1
amdhsa.target:   amdgcn-amd-amdhsa--gfx1201
amdhsa.version:
  - 1
  - 2
...

	.end_amdgpu_metadata
